;; amdgpu-corpus repo=ROCm/rocFFT kind=compiled arch=gfx906 opt=O3
	.text
	.amdgcn_target "amdgcn-amd-amdhsa--gfx906"
	.amdhsa_code_object_version 6
	.protected	bluestein_single_fwd_len272_dim1_sp_op_CI_CI ; -- Begin function bluestein_single_fwd_len272_dim1_sp_op_CI_CI
	.globl	bluestein_single_fwd_len272_dim1_sp_op_CI_CI
	.p2align	8
	.type	bluestein_single_fwd_len272_dim1_sp_op_CI_CI,@function
bluestein_single_fwd_len272_dim1_sp_op_CI_CI: ; @bluestein_single_fwd_len272_dim1_sp_op_CI_CI
; %bb.0:
	s_mov_b64 s[22:23], s[2:3]
	v_mul_u32_u24_e32 v1, 0xf10, v0
	s_mov_b64 s[20:21], s[0:1]
	s_load_dwordx4 s[0:3], s[4:5], 0x28
	v_lshrrev_b32_e32 v1, 16, v1
	s_add_u32 s20, s20, s7
	v_mad_u64_u32 v[78:79], s[6:7], s6, 7, v[1:2]
	v_mov_b32_e32 v79, 0
	s_addc_u32 s21, s21, 0
	s_waitcnt lgkmcnt(0)
	v_cmp_gt_u64_e32 vcc, s[0:1], v[78:79]
	s_and_saveexec_b64 s[0:1], vcc
	s_cbranch_execz .LBB0_10
; %bb.1:
	s_load_dwordx4 s[12:15], s[4:5], 0x18
	s_load_dwordx4 s[8:11], s[4:5], 0x0
	s_mov_b32 s0, 0x24924925
	v_mul_hi_u32 v2, v78, s0
	v_mul_lo_u16_e32 v1, 17, v1
	s_waitcnt lgkmcnt(0)
	s_load_dwordx4 s[16:19], s[12:13], 0x0
	v_sub_u16_e32 v197, v0, v1
	v_sub_u32_e32 v0, v78, v2
	v_lshrrev_b32_e32 v3, 1, v0
	v_add_u32_e32 v7, v3, v2
	s_waitcnt lgkmcnt(0)
	v_mad_u64_u32 v[0:1], s[0:1], s18, v78, 0
	v_mad_u64_u32 v[2:3], s[0:1], s16, v197, 0
	v_lshlrev_b32_e32 v104, 3, v197
	v_mad_u64_u32 v[4:5], s[0:1], s19, v78, v[1:2]
	v_mov_b32_e32 v1, v3
	v_mad_u64_u32 v[5:6], s[0:1], s17, v197, v[1:2]
	v_lshrrev_b32_e32 v1, 2, v7
	v_mul_lo_u32 v34, v1, 7
	v_mov_b32_e32 v1, v4
	v_lshlrev_b64 v[0:1], 3, v[0:1]
	v_mov_b32_e32 v3, v5
	v_mov_b32_e32 v4, s3
	v_add_co_u32_e32 v5, vcc, s2, v0
	v_addc_co_u32_e32 v4, vcc, v4, v1, vcc
	v_lshlrev_b64 v[0:1], 3, v[2:3]
	s_mul_i32 s0, s17, 0x88
	v_add_co_u32_e32 v0, vcc, v5, v0
	s_mul_hi_u32 s1, s16, 0x88
	v_addc_co_u32_e32 v1, vcc, v4, v1, vcc
	s_add_i32 s0, s1, s0
	s_mul_i32 s1, s16, 0x88
	global_load_dwordx2 v[2:3], v[0:1], off
	v_mov_b32_e32 v4, s0
	v_add_co_u32_e32 v0, vcc, s1, v0
	v_addc_co_u32_e32 v1, vcc, v1, v4, vcc
	v_mov_b32_e32 v5, s0
	v_add_co_u32_e32 v4, vcc, s1, v0
	v_addc_co_u32_e32 v5, vcc, v1, v5, vcc
	;; [unrolled: 3-line block ×4, first 2 shown]
	global_load_dwordx2 v[95:96], v104, s[8:9]
	global_load_dwordx2 v[93:94], v104, s[8:9] offset:136
	global_load_dwordx2 v[89:90], v104, s[8:9] offset:272
	;; [unrolled: 1-line block ×3, first 2 shown]
	global_load_dwordx2 v[10:11], v[0:1], off
	global_load_dwordx2 v[12:13], v[4:5], off
	;; [unrolled: 1-line block ×4, first 2 shown]
	v_mov_b32_e32 v1, s0
	v_add_co_u32_e32 v0, vcc, s1, v8
	v_addc_co_u32_e32 v1, vcc, v9, v1, vcc
	global_load_dwordx2 v[4:5], v[0:1], off
	v_mov_b32_e32 v6, s0
	v_add_co_u32_e32 v0, vcc, s1, v0
	v_addc_co_u32_e32 v1, vcc, v1, v6, vcc
	global_load_dwordx2 v[6:7], v[0:1], off
	;; [unrolled: 4-line block ×3, first 2 shown]
	global_load_dwordx2 v[91:92], v104, s[8:9] offset:544
	global_load_dwordx2 v[87:88], v104, s[8:9] offset:680
	;; [unrolled: 1-line block ×4, first 2 shown]
	v_mov_b32_e32 v18, s0
	v_add_co_u32_e32 v0, vcc, s1, v0
	v_addc_co_u32_e32 v1, vcc, v1, v18, vcc
	global_load_dwordx2 v[18:19], v[0:1], off
	v_mov_b32_e32 v20, s0
	v_add_co_u32_e32 v0, vcc, s1, v0
	v_addc_co_u32_e32 v1, vcc, v1, v20, vcc
	global_load_dwordx2 v[20:21], v[0:1], off
	;; [unrolled: 4-line block ×4, first 2 shown]
	global_load_dwordx2 v[83:84], v104, s[8:9] offset:1088
	global_load_dwordx2 v[79:80], v104, s[8:9] offset:1224
	;; [unrolled: 1-line block ×4, first 2 shown]
	v_mov_b32_e32 v26, s0
	v_add_co_u32_e32 v0, vcc, s1, v0
	v_addc_co_u32_e32 v1, vcc, v1, v26, vcc
	global_load_dwordx2 v[26:27], v[0:1], off
	global_load_dwordx2 v[68:69], v104, s[8:9] offset:1632
	v_mov_b32_e32 v28, s0
	v_add_co_u32_e32 v0, vcc, s1, v0
	v_addc_co_u32_e32 v1, vcc, v1, v28, vcc
	global_load_dwordx2 v[28:29], v[0:1], off
	v_mov_b32_e32 v30, s0
	v_add_co_u32_e32 v0, vcc, s1, v0
	v_addc_co_u32_e32 v1, vcc, v1, v30, vcc
	global_load_dwordx2 v[70:71], v104, s[8:9] offset:1768
	global_load_dwordx2 v[30:31], v[0:1], off
	global_load_dwordx2 v[66:67], v104, s[8:9] offset:1904
	v_mov_b32_e32 v32, s0
	v_add_co_u32_e32 v0, vcc, s1, v0
	v_addc_co_u32_e32 v1, vcc, v1, v32, vcc
	global_load_dwordx2 v[32:33], v[0:1], off
	global_load_dwordx2 v[64:65], v104, s[8:9] offset:2040
	v_sub_u32_e32 v0, v78, v34
	v_mul_u32_u24_e32 v99, 0x110, v0
	v_mov_b32_e32 v0, s9
	v_add_co_u32_e32 v97, vcc, s8, v104
	v_addc_co_u32_e32 v98, vcc, 0, v0, vcc
	v_lshlrev_b32_e32 v211, 3, v99
	v_add_u32_e32 v101, v104, v211
	s_waitcnt vmcnt(30)
	v_mul_f32_e32 v0, v3, v96
	v_mul_f32_e32 v1, v2, v96
	v_fmac_f32_e32 v0, v2, v95
	v_fma_f32 v1, v3, v95, -v1
	s_waitcnt vmcnt(26)
	v_mul_f32_e32 v2, v11, v94
	v_mul_f32_e32 v3, v10, v94
	v_fmac_f32_e32 v2, v10, v93
	v_fma_f32 v3, v11, v93, -v3
	s_load_dwordx2 s[6:7], s[4:5], 0x38
	s_load_dwordx4 s[0:3], s[14:15], 0x0
	ds_write2_b64 v101, v[0:1], v[2:3] offset1:17
	s_waitcnt vmcnt(25)
	v_mul_f32_e32 v0, v13, v90
	v_mul_f32_e32 v1, v12, v90
	s_waitcnt vmcnt(24)
	v_mul_f32_e32 v2, v15, v86
	v_mul_f32_e32 v3, v14, v86
	v_fmac_f32_e32 v0, v12, v89
	v_fma_f32 v1, v13, v89, -v1
	v_fmac_f32_e32 v2, v14, v85
	v_fma_f32 v3, v15, v85, -v3
	ds_write2_b64 v101, v[0:1], v[2:3] offset0:34 offset1:51
	s_waitcnt vmcnt(19)
	v_mul_f32_e32 v0, v17, v92
	v_mul_f32_e32 v1, v16, v92
	s_waitcnt vmcnt(18)
	v_mul_f32_e32 v2, v5, v88
	v_mul_f32_e32 v3, v4, v88
	v_fmac_f32_e32 v0, v16, v91
	v_fma_f32 v1, v17, v91, -v1
	v_fmac_f32_e32 v2, v4, v87
	v_fma_f32 v3, v5, v87, -v3
	ds_write2_b64 v101, v[0:1], v[2:3] offset0:68 offset1:85
	;; [unrolled: 11-line block ×3, first 2 shown]
	v_lshl_add_u32 v105, v197, 7, v211
	v_cmp_gt_u16_e32 vcc, 16, v197
	s_waitcnt vmcnt(11)
	v_mul_f32_e32 v0, v19, v84
	v_mul_f32_e32 v1, v18, v84
	s_waitcnt vmcnt(10)
	v_mul_f32_e32 v2, v21, v80
	v_mul_f32_e32 v3, v20, v80
	v_fmac_f32_e32 v0, v18, v83
	v_fma_f32 v1, v19, v83, -v1
	v_fmac_f32_e32 v2, v20, v79
	v_fma_f32 v3, v21, v79, -v3
	ds_write2_b64 v101, v[0:1], v[2:3] offset0:136 offset1:153
	s_waitcnt vmcnt(9)
	v_mul_f32_e32 v0, v23, v75
	v_mul_f32_e32 v1, v22, v75
	s_waitcnt vmcnt(8)
	v_mul_f32_e32 v2, v25, v73
	v_mul_f32_e32 v3, v24, v73
	v_fmac_f32_e32 v0, v22, v74
	v_fma_f32 v1, v23, v74, -v1
	v_fmac_f32_e32 v2, v24, v72
	v_fma_f32 v3, v25, v72, -v3
	ds_write2_b64 v101, v[0:1], v[2:3] offset0:170 offset1:187
	;; [unrolled: 11-line block ×4, first 2 shown]
	s_waitcnt lgkmcnt(0)
	s_barrier
	ds_read2_b64 v[0:3], v101 offset1:17
	ds_read2_b64 v[4:7], v101 offset0:34 offset1:51
	ds_read2_b64 v[8:11], v101 offset0:68 offset1:85
	;; [unrolled: 1-line block ×7, first 2 shown]
	s_waitcnt lgkmcnt(4)
	v_sub_f32_e32 v12, v0, v12
	v_sub_f32_e32 v13, v1, v13
	s_waitcnt lgkmcnt(2)
	v_sub_f32_e32 v20, v4, v20
	s_waitcnt lgkmcnt(1)
	v_sub_f32_e32 v24, v8, v24
	v_sub_f32_e32 v25, v9, v25
	v_fma_f32 v8, v8, 2.0, -v24
	v_fma_f32 v9, v9, 2.0, -v25
	v_sub_f32_e32 v21, v5, v21
	s_waitcnt lgkmcnt(0)
	v_sub_f32_e32 v28, v16, v28
	v_sub_f32_e32 v29, v17, v29
	;; [unrolled: 1-line block ×3, first 2 shown]
	v_add_f32_e32 v24, v13, v24
	v_fma_f32 v0, v0, 2.0, -v12
	v_fma_f32 v1, v1, 2.0, -v13
	;; [unrolled: 1-line block ×6, first 2 shown]
	v_sub_f32_e32 v29, v20, v29
	v_add_f32_e32 v28, v21, v28
	v_fma_f32 v4, v4, 2.0, -v20
	v_fma_f32 v5, v5, 2.0, -v21
	;; [unrolled: 1-line block ×4, first 2 shown]
	v_mov_b32_e32 v50, v12
	v_mov_b32_e32 v51, v13
	v_sub_f32_e32 v14, v2, v14
	v_sub_f32_e32 v15, v3, v15
	;; [unrolled: 1-line block ×4, first 2 shown]
	v_fmac_f32_e32 v50, 0xbf3504f3, v20
	v_fmac_f32_e32 v51, 0xbf3504f3, v21
	v_fma_f32 v10, v10, 2.0, -v26
	v_fma_f32 v11, v11, 2.0, -v27
	v_sub_f32_e32 v22, v6, v22
	v_sub_f32_e32 v23, v7, v23
	;; [unrolled: 1-line block ×5, first 2 shown]
	v_add_f32_e32 v26, v15, v26
	v_fmac_f32_e32 v50, 0xbf3504f3, v21
	v_fmac_f32_e32 v51, 0x3f3504f3, v20
	v_mov_b32_e32 v20, v25
	v_mov_b32_e32 v21, v24
	v_fma_f32 v2, v2, 2.0, -v14
	v_fma_f32 v3, v3, 2.0, -v15
	;; [unrolled: 1-line block ×6, first 2 shown]
	v_sub_f32_e32 v31, v22, v31
	v_add_f32_e32 v30, v23, v30
	v_fmac_f32_e32 v20, 0x3f3504f3, v29
	v_fmac_f32_e32 v21, 0x3f3504f3, v28
	v_fma_f32 v6, v6, 2.0, -v22
	v_fma_f32 v7, v7, 2.0, -v23
	;; [unrolled: 1-line block ×4, first 2 shown]
	v_fmac_f32_e32 v20, 0xbf3504f3, v28
	v_fmac_f32_e32 v21, 0x3f3504f3, v29
	v_mov_b32_e32 v28, v14
	v_mov_b32_e32 v29, v15
	v_fmac_f32_e32 v28, 0xbf3504f3, v22
	v_fmac_f32_e32 v29, 0xbf3504f3, v23
	v_sub_f32_e32 v8, v0, v8
	v_sub_f32_e32 v9, v1, v9
	;; [unrolled: 1-line block ×6, first 2 shown]
	v_fmac_f32_e32 v28, 0xbf3504f3, v23
	v_fmac_f32_e32 v29, 0x3f3504f3, v22
	v_mov_b32_e32 v22, v27
	v_mov_b32_e32 v23, v26
	v_fma_f32 v1, v1, 2.0, -v9
	v_fma_f32 v4, v4, 2.0, -v16
	;; [unrolled: 1-line block ×3, first 2 shown]
	v_sub_f32_e32 v10, v2, v10
	v_fma_f32 v3, v3, 2.0, -v11
	v_sub_f32_e32 v18, v6, v18
	v_fma_f32 v7, v7, 2.0, -v19
	v_sub_f32_e32 v17, v8, v17
	v_add_f32_e32 v16, v9, v16
	v_fmac_f32_e32 v22, 0x3f3504f3, v31
	v_fmac_f32_e32 v23, 0x3f3504f3, v30
	v_fma_f32 v0, v0, 2.0, -v8
	v_fma_f32 v2, v2, 2.0, -v10
	;; [unrolled: 1-line block ×3, first 2 shown]
	v_sub_f32_e32 v5, v1, v5
	v_fma_f32 v12, v12, 2.0, -v50
	v_fma_f32 v13, v13, 2.0, -v51
	;; [unrolled: 1-line block ×6, first 2 shown]
	v_sub_f32_e32 v7, v3, v7
	v_sub_f32_e32 v19, v10, v19
	v_add_f32_e32 v18, v11, v18
	v_fmac_f32_e32 v22, 0xbf3504f3, v30
	v_fmac_f32_e32 v23, 0x3f3504f3, v31
	v_sub_f32_e32 v4, v0, v4
	v_fma_f32 v1, v1, 2.0, -v5
	v_sub_f32_e32 v6, v2, v6
	v_fma_f32 v3, v3, 2.0, -v7
	v_fma_f32 v14, v14, 2.0, -v28
	v_fma_f32 v15, v15, 2.0, -v29
	v_fma_f32 v10, v10, 2.0, -v19
	v_fma_f32 v11, v11, 2.0, -v18
	v_fma_f32 v27, v27, 2.0, -v22
	v_fma_f32 v26, v26, 2.0, -v23
	v_mov_b32_e32 v38, v12
	v_mov_b32_e32 v39, v13
	;; [unrolled: 1-line block ×12, first 2 shown]
	v_fma_f32 v0, v0, 2.0, -v4
	v_fma_f32 v2, v2, 2.0, -v6
	v_sub_f32_e32 v37, v1, v3
	v_fmac_f32_e32 v38, 0xbf6c835e, v14
	v_fmac_f32_e32 v39, 0xbf6c835e, v15
	;; [unrolled: 1-line block ×12, first 2 shown]
	v_sub_f32_e32 v36, v0, v2
	v_fma_f32 v33, v1, 2.0, -v37
	v_fmac_f32_e32 v38, 0xbec3ef15, v15
	v_fmac_f32_e32 v39, 0x3ec3ef15, v14
	;; [unrolled: 1-line block ×6, first 2 shown]
	v_sub_f32_e32 v52, v4, v7
	v_add_f32_e32 v53, v5, v6
	v_fmac_f32_e32 v54, 0xbf6c835e, v29
	v_fmac_f32_e32 v55, 0x3f6c835e, v28
	v_fmac_f32_e32 v60, 0xbf3504f3, v18
	v_fmac_f32_e32 v61, 0x3f3504f3, v19
	v_fmac_f32_e32 v62, 0xbec3ef15, v23
	v_fmac_f32_e32 v63, 0x3ec3ef15, v22
	v_or_b32_e32 v1, v99, v197
	v_fma_f32 v32, v0, 2.0, -v36
	v_fma_f32 v34, v12, 2.0, -v38
	;; [unrolled: 1-line block ×15, first 2 shown]
	v_lshlrev_b32_e32 v0, 4, v197
	v_lshlrev_b32_e32 v106, 3, v1
	s_barrier
	ds_write_b128 v105, v[32:35]
	ds_write_b128 v105, v[40:43] offset:16
	ds_write_b128 v105, v[48:51] offset:32
	;; [unrolled: 1-line block ×7, first 2 shown]
	s_waitcnt lgkmcnt(0)
	s_barrier
	s_waitcnt lgkmcnt(0)
                                        ; implicit-def: $vgpr99
	s_and_saveexec_b64 s[4:5], vcc
	s_cbranch_execz .LBB0_3
; %bb.2:
	ds_read2_b64 v[32:35], v106 offset1:16
	ds_read2_b64 v[40:43], v106 offset0:32 offset1:48
	ds_read2_b64 v[48:51], v106 offset0:64 offset1:80
	;; [unrolled: 1-line block ×7, first 2 shown]
	ds_read_b64 v[99:100], v106 offset:2048
.LBB0_3:
	s_or_b64 exec, exec, s[4:5]
	v_and_b32_e32 v0, 0xf0, v0
	v_lshlrev_b32_e32 v107, 3, v0
	global_load_dwordx4 v[20:23], v107, s[10:11]
	global_load_dwordx4 v[12:15], v107, s[10:11] offset:16
	global_load_dwordx4 v[4:7], v107, s[10:11] offset:32
	;; [unrolled: 1-line block ×7, first 2 shown]
	s_mov_b32 s10, 0x3f6eb680
	s_mov_b32 s11, 0x3f3d2fb0
	;; [unrolled: 1-line block ×8, first 2 shown]
	s_waitcnt vmcnt(7) lgkmcnt(8)
	v_mul_f32_e32 v107, v34, v21
	s_waitcnt lgkmcnt(7)
	v_mul_f32_e32 v108, v40, v23
	v_fmac_f32_e32 v107, v35, v20
	v_mul_f32_e32 v122, v35, v21
	v_fmac_f32_e32 v108, v41, v22
	s_waitcnt vmcnt(2) lgkmcnt(3)
	v_mul_f32_e32 v133, v47, v17
	s_waitcnt vmcnt(1) lgkmcnt(2)
	v_mul_f32_e32 v119, v54, v25
	;; [unrolled: 2-line block ×3, first 2 shown]
	v_mul_f32_e32 v121, v62, v29
	v_fmac_f32_e32 v123, v100, v30
	v_mul_f32_e32 v138, v100, v31
	v_fmac_f32_e32 v121, v63, v28
	v_sub_f32_e32 v141, v107, v123
	v_mul_f32_e32 v124, v41, v23
	v_mul_f32_e32 v111, v50, v5
	;; [unrolled: 1-line block ×8, first 2 shown]
	v_fma_f32 v122, v34, v20, -v122
	v_fma_f32 v46, v46, v16, -v133
	v_fmac_f32_e32 v119, v55, v24
	v_fma_f32 v55, v99, v30, -v138
	v_mul_f32_e32 v133, 0xbeb8f4ab, v141
	v_sub_f32_e32 v144, v108, v121
	v_mul_f32_e32 v109, v42, v13
	v_mul_f32_e32 v110, v48, v15
	;; [unrolled: 1-line block ×9, first 2 shown]
	v_fma_f32 v124, v40, v22, -v124
	v_fmac_f32_e32 v111, v51, v4
	v_fma_f32 v51, v58, v0, -v129
	v_fma_f32 v58, v44, v10, -v132
	v_fmac_f32_e32 v117, v47, v16
	v_fma_f32 v47, v52, v18, -v134
	v_fma_f32 v52, v54, v24, -v135
	;; [unrolled: 1-line block ×3, first 2 shown]
	v_add_f32_e32 v44, v122, v55
	v_sub_f32_e32 v150, v122, v55
	v_mov_b32_e32 v34, v133
	v_mul_f32_e32 v135, 0xbf2c7751, v144
	v_mul_f32_e32 v126, v49, v15
	;; [unrolled: 1-line block ×4, first 2 shown]
	v_fmac_f32_e32 v109, v43, v12
	v_fmac_f32_e32 v110, v49, v14
	v_fma_f32 v49, v50, v4, -v127
	v_fma_f32 v50, v56, v6, -v128
	v_fmac_f32_e32 v113, v59, v0
	v_fma_f32 v56, v36, v2, -v130
	v_fmac_f32_e32 v116, v45, v10
	v_fmac_f32_e32 v120, v61, v26
	v_add_f32_e32 v59, v107, v123
	v_add_f32_e32 v45, v124, v54
	v_sub_f32_e32 v153, v124, v54
	v_mul_f32_e32 v137, 0xbeb8f4ab, v150
	v_fmac_f32_e32 v34, 0x3f6eb680, v44
	v_mov_b32_e32 v36, v135
	v_mul_f32_e32 v125, v43, v13
	v_mul_f32_e32 v136, v61, v27
	v_add_f32_e32 v61, v108, v121
	v_fma_f32 v35, v59, s10, -v137
	v_add_f32_e32 v34, v32, v34
	v_mul_f32_e32 v139, 0xbf2c7751, v153
	v_fmac_f32_e32 v36, 0x3f3d2fb0, v45
	v_sub_f32_e32 v147, v109, v120
	v_fma_f32 v125, v42, v12, -v125
	v_fmac_f32_e32 v118, v53, v18
	v_fma_f32 v53, v60, v26, -v136
	v_add_f32_e32 v35, v33, v35
	v_add_f32_e32 v34, v36, v34
	v_fma_f32 v36, v61, s11, -v139
	v_mul_f32_e32 v138, 0xbf65296c, v147
	v_add_f32_e32 v35, v36, v35
	v_add_f32_e32 v60, v125, v53
	v_sub_f32_e32 v158, v125, v53
	v_mov_b32_e32 v36, v138
	v_fma_f32 v48, v48, v14, -v126
	v_add_f32_e32 v126, v109, v120
	v_mul_f32_e32 v142, 0xbf65296c, v158
	v_fmac_f32_e32 v36, 0x3ee437d1, v60
	v_sub_f32_e32 v151, v110, v119
	v_add_f32_e32 v34, v36, v34
	v_fma_f32 v36, v126, s12, -v142
	v_mul_f32_e32 v140, 0xbf7ee86f, v151
	v_add_f32_e32 v35, v36, v35
	v_add_f32_e32 v62, v48, v52
	v_sub_f32_e32 v161, v48, v52
	v_mov_b32_e32 v36, v140
	v_add_f32_e32 v128, v110, v119
	v_mul_f32_e32 v145, 0xbf7ee86f, v161
	v_fmac_f32_e32 v36, 0x3dbcf732, v62
	v_sub_f32_e32 v155, v111, v118
	v_add_f32_e32 v34, v36, v34
	v_fma_f32 v36, v128, s13, -v145
	v_mul_f32_e32 v143, 0xbf763a35, v155
	v_fmac_f32_e32 v112, v57, v6
	v_add_f32_e32 v35, v36, v35
	v_add_f32_e32 v63, v49, v47
	v_sub_f32_e32 v170, v49, v47
	v_mov_b32_e32 v36, v143
	v_add_f32_e32 v130, v111, v118
	v_mul_f32_e32 v148, 0xbf763a35, v170
	v_fmac_f32_e32 v36, 0xbe8c1d8e, v63
	v_sub_f32_e32 v157, v112, v117
	v_add_f32_e32 v34, v36, v34
	v_fma_f32 v36, v130, s14, -v148
	v_mul_f32_e32 v146, 0xbf4c4adb, v157
	v_add_f32_e32 v35, v36, v35
	v_add_f32_e32 v127, v50, v46
	v_sub_f32_e32 v172, v50, v46
	v_mov_b32_e32 v36, v146
	v_add_f32_e32 v132, v112, v117
	v_mul_f32_e32 v152, 0xbf4c4adb, v172
	v_fmac_f32_e32 v36, 0xbf1a4643, v127
	v_sub_f32_e32 v159, v113, v116
	v_mul_f32_e32 v115, v38, v9
	v_add_f32_e32 v34, v36, v34
	v_fma_f32 v36, v132, s15, -v152
	v_mul_f32_e32 v149, 0xbf06c442, v159
	v_fmac_f32_e32 v114, v37, v2
	v_fmac_f32_e32 v115, v39, v8
	v_add_f32_e32 v35, v36, v35
	v_add_f32_e32 v129, v51, v58
	v_sub_f32_e32 v181, v51, v58
	v_mov_b32_e32 v36, v149
	v_mul_f32_e32 v131, v39, v9
	v_add_f32_e32 v134, v113, v116
	v_mul_f32_e32 v156, 0xbf06c442, v181
	v_fmac_f32_e32 v36, 0xbf59a7d5, v129
	v_sub_f32_e32 v171, v114, v115
	v_fma_f32 v57, v38, v8, -v131
	v_add_f32_e32 v34, v36, v34
	v_fma_f32 v36, v134, s16, -v156
	v_mul_f32_e32 v154, 0xbe3c28d5, v171
	v_add_f32_e32 v35, v36, v35
	v_add_f32_e32 v131, v56, v57
	v_mov_b32_e32 v36, v154
	v_sub_f32_e32 v182, v56, v57
	v_add_f32_e32 v136, v114, v115
	v_fmac_f32_e32 v36, 0xbf7ba420, v131
	v_mul_f32_e32 v160, 0xbe3c28d5, v182
	v_add_f32_e32 v99, v36, v34
	v_fma_f32 v34, v136, s17, -v160
	v_add_f32_e32 v100, v34, v35
	s_and_saveexec_b64 s[4:5], vcc
	s_cbranch_execz .LBB0_5
; %bb.4:
	v_mul_f32_e32 v183, 0x3ee437d1, v59
	v_mov_b32_e32 v34, v183
	v_mul_f32_e32 v184, 0xbf1a4643, v61
	v_fmac_f32_e32 v34, 0x3f65296c, v150
	v_mov_b32_e32 v35, v184
	v_add_f32_e32 v34, v33, v34
	v_fmac_f32_e32 v35, 0x3f4c4adb, v153
	v_mul_f32_e32 v185, 0xbf7ba420, v126
	v_add_f32_e32 v34, v35, v34
	v_mov_b32_e32 v35, v185
	v_fmac_f32_e32 v35, 0xbe3c28d5, v158
	v_mul_f32_e32 v186, 0xbe8c1d8e, v128
	v_add_f32_e32 v34, v35, v34
	v_mov_b32_e32 v35, v186
	;; [unrolled: 4-line block ×6, first 2 shown]
	v_fmac_f32_e32 v35, 0x3f06c442, v182
	v_add_f32_e32 v35, v35, v34
	v_mul_f32_e32 v34, 0xbf65296c, v141
	v_fmac_f32_e32 v34, 0x3ee437d1, v44
	v_mul_f32_e32 v36, 0xbf4c4adb, v144
	v_add_f32_e32 v34, v32, v34
	v_fmac_f32_e32 v36, 0xbf1a4643, v45
	v_add_f32_e32 v34, v36, v34
	v_mul_f32_e32 v36, 0x3e3c28d5, v147
	v_fmac_f32_e32 v36, 0xbf7ba420, v60
	v_add_f32_e32 v34, v36, v34
	v_mul_f32_e32 v36, 0x3f763a35, v151
	;; [unrolled: 3-line block ×5, first 2 shown]
	v_fmac_f32_e32 v36, 0x3dbcf732, v129
	v_mul_f32_e32 v198, 0xbf06c442, v171
	v_add_f32_e32 v34, v36, v34
	v_mov_b32_e32 v36, v198
	v_fmac_f32_e32 v36, 0xbf59a7d5, v131
	v_mul_f32_e32 v209, 0x3dbcf732, v59
	v_add_f32_e32 v34, v36, v34
	v_mov_b32_e32 v36, v209
	v_mul_f32_e32 v210, 0xbf7ba420, v61
	v_fmac_f32_e32 v36, 0x3f7ee86f, v150
	v_mov_b32_e32 v37, v210
	buffer_store_dword v34, off, s[20:23], 0 offset:4 ; 4-byte Folded Spill
	s_nop 0
	buffer_store_dword v35, off, s[20:23], 0 offset:8 ; 4-byte Folded Spill
	v_add_f32_e32 v36, v33, v36
	v_fmac_f32_e32 v37, 0x3e3c28d5, v153
	buffer_store_dword v211, off, s[20:23], 0 ; 4-byte Folded Spill
	v_mul_f32_e32 v211, 0xbe8c1d8e, v126
	v_add_f32_e32 v36, v37, v36
	v_mov_b32_e32 v37, v211
	v_fmac_f32_e32 v37, 0xbf763a35, v158
	v_mul_f32_e32 v212, 0x3f6eb680, v128
	v_add_f32_e32 v36, v37, v36
	v_mov_b32_e32 v37, v212
	v_fmac_f32_e32 v37, 0xbeb8f4ab, v161
	v_mul_f32_e32 v213, 0x3ee437d1, v130
	v_add_f32_e32 v36, v37, v36
	v_mov_b32_e32 v37, v213
	v_fmac_f32_e32 v37, 0x3f65296c, v170
	v_mul_f32_e32 v214, 0xbf59a7d5, v132
	v_add_f32_e32 v36, v37, v36
	v_mov_b32_e32 v37, v214
	v_fmac_f32_e32 v37, 0x3f06c442, v172
	v_mul_f32_e32 v215, 0xbf1a4643, v134
	v_add_f32_e32 v36, v37, v36
	v_mov_b32_e32 v37, v215
	v_fmac_f32_e32 v37, 0xbf4c4adb, v181
	v_mul_f32_e32 v216, 0x3f3d2fb0, v136
	v_add_f32_e32 v36, v37, v36
	v_mov_b32_e32 v37, v216
	v_fmac_f32_e32 v37, 0xbf2c7751, v182
	v_mul_f32_e32 v217, 0xbf7ee86f, v141
	v_add_f32_e32 v37, v37, v36
	v_mov_b32_e32 v36, v217
	v_mul_f32_e32 v218, 0xbe3c28d5, v144
	v_fmac_f32_e32 v36, 0x3dbcf732, v44
	v_mov_b32_e32 v38, v218
	v_add_f32_e32 v36, v32, v36
	v_fmac_f32_e32 v38, 0xbf7ba420, v45
	v_mul_f32_e32 v219, 0x3f763a35, v147
	v_add_f32_e32 v36, v38, v36
	v_mov_b32_e32 v38, v219
	v_fmac_f32_e32 v38, 0xbe8c1d8e, v60
	v_mul_f32_e32 v220, 0x3eb8f4ab, v151
	v_add_f32_e32 v36, v38, v36
	v_mov_b32_e32 v38, v220
	v_fmac_f32_e32 v38, 0x3f6eb680, v62
	v_mul_f32_e32 v221, 0xbf65296c, v155
	v_add_f32_e32 v36, v38, v36
	v_mov_b32_e32 v38, v221
	v_fmac_f32_e32 v38, 0x3ee437d1, v63
	v_mul_f32_e32 v222, 0xbf06c442, v157
	v_add_f32_e32 v36, v38, v36
	v_mov_b32_e32 v38, v222
	v_fmac_f32_e32 v38, 0xbf59a7d5, v127
	v_mul_f32_e32 v223, 0x3f4c4adb, v159
	v_add_f32_e32 v36, v38, v36
	v_mov_b32_e32 v38, v223
	v_fmac_f32_e32 v38, 0xbf1a4643, v129
	v_mul_f32_e32 v224, 0x3f2c7751, v171
	v_add_f32_e32 v36, v38, v36
	v_mov_b32_e32 v38, v224
	v_fmac_f32_e32 v38, 0x3f3d2fb0, v131
	v_mul_f32_e32 v207, 0xbe8c1d8e, v59
	v_add_f32_e32 v36, v38, v36
	v_mov_b32_e32 v38, v207
	v_mul_f32_e32 v208, 0xbf59a7d5, v61
	v_fmac_f32_e32 v38, 0x3f763a35, v150
	v_mov_b32_e32 v39, v208
	v_add_f32_e32 v38, v33, v38
	v_fmac_f32_e32 v39, 0xbf06c442, v153
	;; [unrolled: 32-line block ×6, first 2 shown]
	v_mul_f32_e32 v253, 0x3dbcf732, v126
	v_add_f32_e32 v42, v43, v42
	v_mov_b32_e32 v43, v253
	v_fmac_f32_e32 v43, 0x3f7ee86f, v158
	v_mul_f32_e32 v254, 0xbf1a4643, v128
	v_add_f32_e32 v42, v43, v42
	v_mov_b32_e32 v43, v254
	v_fmac_f32_e32 v43, 0xbf4c4adb, v161
	;; [unrolled: 4-line block ×5, first 2 shown]
	v_mul_f32_e32 v162, 0xbe8c1d8e, v136
	v_add_f32_e32 v42, v43, v42
	v_mov_b32_e32 v43, v162
	v_mul_f32_e32 v34, 0xbf06c442, v141
	v_fmac_f32_e32 v43, 0x3f763a35, v182
	v_mov_b32_e32 v35, v34
	v_mul_f32_e32 v163, 0x3f65296c, v144
	v_add_f32_e32 v43, v43, v42
	v_fmac_f32_e32 v35, 0xbf59a7d5, v44
	v_mov_b32_e32 v42, v163
	v_add_f32_e32 v35, v32, v35
	v_fmac_f32_e32 v42, 0x3ee437d1, v45
	v_mul_f32_e32 v166, 0xbf7ee86f, v147
	v_add_f32_e32 v35, v42, v35
	v_mov_b32_e32 v42, v166
	v_fmac_f32_e32 v42, 0x3dbcf732, v60
	v_mul_f32_e32 v167, 0x3f4c4adb, v151
	v_add_f32_e32 v35, v42, v35
	v_mov_b32_e32 v42, v167
	;; [unrolled: 4-line block ×6, first 2 shown]
	v_fmac_f32_e32 v42, 0xbe8c1d8e, v131
	v_add_f32_e32 v42, v42, v35
	v_mul_f32_e32 v35, 0xbf7ba420, v59
	v_mov_b32_e32 v199, v35
	v_mul_f32_e32 v201, 0x3f6eb680, v61
	v_fmac_f32_e32 v199, 0x3e3c28d5, v150
	v_mov_b32_e32 v200, v201
	v_add_f32_e32 v199, v33, v199
	v_fmac_f32_e32 v200, 0xbeb8f4ab, v153
	v_mul_f32_e32 v202, 0xbf59a7d5, v126
	v_add_f32_e32 v199, v200, v199
	v_mov_b32_e32 v200, v202
	v_fmac_f32_e32 v200, 0x3f06c442, v158
	v_mul_f32_e32 v175, 0x3f3d2fb0, v128
	v_add_f32_e32 v199, v200, v199
	v_mov_b32_e32 v200, v175
	v_fmac_f32_e32 v200, 0xbf2c7751, v161
	v_mul_f32_e32 v176, 0xbf1a4643, v130
	v_fmac_f32_e32 v35, 0xbe3c28d5, v150
	v_add_f32_e32 v199, v200, v199
	v_mov_b32_e32 v200, v176
	v_add_f32_e32 v35, v33, v35
	v_fmac_f32_e32 v201, 0x3eb8f4ab, v153
	v_fmac_f32_e32 v200, 0x3f4c4adb, v170
	v_mul_f32_e32 v177, 0x3ee437d1, v132
	v_add_f32_e32 v35, v201, v35
	v_fmac_f32_e32 v202, 0xbf06c442, v158
	v_add_f32_e32 v199, v200, v199
	v_mov_b32_e32 v200, v177
	v_add_f32_e32 v35, v202, v35
	v_fmac_f32_e32 v175, 0x3f2c7751, v161
	v_fmac_f32_e32 v200, 0xbf65296c, v172
	v_mul_f32_e32 v178, 0xbe8c1d8e, v134
	v_add_f32_e32 v35, v175, v35
	;; [unrolled: 8-line block ×3, first 2 shown]
	v_fmac_f32_e32 v178, 0xbf763a35, v181
	v_add_f32_e32 v199, v200, v199
	v_mov_b32_e32 v200, v179
	v_mul_f32_e32 v180, 0xbe3c28d5, v141
	v_add_f32_e32 v35, v178, v35
	v_fmac_f32_e32 v179, 0x3f7ee86f, v182
	v_fmac_f32_e32 v200, 0xbf7ee86f, v182
	v_mul_f32_e32 v164, 0x3eb8f4ab, v144
	v_add_f32_e32 v202, v179, v35
	v_fma_f32 v35, v44, s17, -v180
	v_add_f32_e32 v200, v200, v199
	v_mov_b32_e32 v199, v164
	v_mul_f32_e32 v191, 0xbf06c442, v147
	v_add_f32_e32 v35, v32, v35
	v_fma_f32 v164, v45, s10, -v164
	v_mul_f32_e32 v192, 0x3f2c7751, v151
	v_add_f32_e32 v35, v164, v35
	v_fma_f32 v164, v60, s16, -v191
	;; [unrolled: 3-line block ×6, first 2 shown]
	v_add_f32_e32 v35, v164, v35
	v_fma_f32 v164, v131, s13, -v196
	v_fmac_f32_e32 v203, 0xbf06c442, v150
	v_add_f32_e32 v201, v164, v35
	v_add_f32_e32 v35, v33, v203
	v_fmac_f32_e32 v204, 0x3f65296c, v153
	v_add_f32_e32 v35, v204, v35
	v_fmac_f32_e32 v253, 0xbf7ee86f, v158
	;; [unrolled: 2-line block ×7, first 2 shown]
	v_fma_f32 v34, v44, s16, -v34
	v_add_f32_e32 v204, v162, v35
	v_add_f32_e32 v34, v32, v34
	v_fma_f32 v35, v45, s12, -v163
	v_add_f32_e32 v34, v35, v34
	v_fma_f32 v35, v60, s13, -v166
	v_add_f32_e32 v34, v35, v34
	v_fma_f32 v35, v62, s15, -v167
	v_add_f32_e32 v34, v35, v34
	v_fma_f32 v35, v63, s10, -v168
	v_add_f32_e32 v34, v35, v34
	v_fma_f32 v35, v127, s17, -v169
	v_add_f32_e32 v34, v35, v34
	v_fma_f32 v35, v129, s11, -v173
	v_add_f32_e32 v34, v35, v34
	v_fma_f32 v35, v131, s14, -v174
	v_fmac_f32_e32 v205, 0xbf4c4adb, v150
	v_add_f32_e32 v203, v35, v34
	v_add_f32_e32 v34, v33, v205
	v_fmac_f32_e32 v206, 0x3f763a35, v153
	v_add_f32_e32 v34, v206, v34
	v_fmac_f32_e32 v239, 0xbeb8f4ab, v158
	v_add_f32_e32 v34, v239, v34
	v_fmac_f32_e32 v240, 0xbf06c442, v161
	v_add_f32_e32 v34, v240, v34
	v_fmac_f32_e32 v241, 0x3f7ee86f, v170
	v_add_f32_e32 v34, v241, v34
	v_fmac_f32_e32 v242, 0xbf2c7751, v172
	v_add_f32_e32 v34, v242, v34
	v_fmac_f32_e32 v243, 0xbe3c28d5, v181
	v_add_f32_e32 v34, v243, v34
	v_fmac_f32_e32 v244, 0x3f65296c, v182
	v_add_f32_e32 v206, v244, v34
	v_fma_f32 v34, v44, s15, -v245
	v_add_f32_e32 v34, v32, v34
	v_fma_f32 v35, v45, s14, -v246
	v_add_f32_e32 v34, v35, v34
	v_fma_f32 v35, v60, s10, -v247
	v_add_f32_e32 v34, v35, v34
	v_fma_f32 v35, v62, s16, -v248
	v_add_f32_e32 v34, v35, v34
	v_fma_f32 v35, v63, s13, -v249
	v_add_f32_e32 v34, v35, v34
	v_fma_f32 v35, v127, s11, -v250
	v_add_f32_e32 v34, v35, v34
	v_fma_f32 v35, v129, s17, -v251
	v_add_f32_e32 v34, v35, v34
	v_fma_f32 v35, v131, s12, -v252
	v_fmac_f32_e32 v207, 0xbf763a35, v150
	v_add_f32_e32 v205, v35, v34
	v_add_f32_e32 v34, v33, v207
	v_fmac_f32_e32 v208, 0x3f06c442, v153
	v_add_f32_e32 v34, v208, v34
	v_fmac_f32_e32 v225, 0x3f2c7751, v158
	v_add_f32_e32 v34, v225, v34
	v_fmac_f32_e32 v226, 0xbf65296c, v161
	v_add_f32_e32 v34, v226, v34
	v_fmac_f32_e32 v227, 0xbe3c28d5, v170
	v_add_f32_e32 v34, v227, v34
	v_fmac_f32_e32 v228, 0x3f7ee86f, v172
	v_add_f32_e32 v34, v228, v34
	v_fmac_f32_e32 v229, 0xbeb8f4ab, v181
	v_add_f32_e32 v34, v229, v34
	v_fmac_f32_e32 v230, 0xbf4c4adb, v182
	v_add_f32_e32 v208, v230, v34
	v_fma_f32 v34, v44, s14, -v231
	v_add_f32_e32 v34, v32, v34
	v_fma_f32 v35, v45, s16, -v232
	v_add_f32_e32 v34, v35, v34
	v_fma_f32 v35, v60, s11, -v233
	v_add_f32_e32 v34, v35, v34
	v_fma_f32 v35, v62, s12, -v234
	v_add_f32_e32 v34, v35, v34
	v_fma_f32 v35, v63, s17, -v235
	v_add_f32_e32 v34, v35, v34
	v_fma_f32 v35, v127, s13, -v236
	v_add_f32_e32 v34, v35, v34
	v_fma_f32 v35, v129, s10, -v237
	v_add_f32_e32 v34, v35, v34
	v_fma_f32 v35, v131, s15, -v238
	v_fmac_f32_e32 v209, 0xbf7ee86f, v150
	v_add_f32_e32 v207, v35, v34
	v_add_f32_e32 v34, v33, v209
	v_fmac_f32_e32 v210, 0xbe3c28d5, v153
	v_add_f32_e32 v34, v210, v34
	v_fmac_f32_e32 v211, 0x3f763a35, v158
	v_add_f32_e32 v34, v211, v34
	v_fmac_f32_e32 v212, 0x3eb8f4ab, v161
	v_add_f32_e32 v34, v212, v34
	v_fmac_f32_e32 v213, 0xbf65296c, v170
	v_add_f32_e32 v34, v213, v34
	v_fmac_f32_e32 v214, 0xbf06c442, v172
	v_add_f32_e32 v34, v214, v34
	v_fmac_f32_e32 v215, 0x3f4c4adb, v181
	v_add_f32_e32 v34, v215, v34
	v_fmac_f32_e32 v216, 0x3f2c7751, v182
	v_add_f32_e32 v210, v216, v34
	v_fma_f32 v34, v44, s13, -v217
	v_add_f32_e32 v34, v32, v34
	v_fma_f32 v35, v45, s17, -v218
	v_add_f32_e32 v34, v35, v34
	v_fma_f32 v35, v60, s14, -v219
	v_add_f32_e32 v34, v35, v34
	v_fma_f32 v35, v62, s10, -v220
	v_add_f32_e32 v34, v35, v34
	v_fma_f32 v35, v63, s12, -v221
	v_add_f32_e32 v34, v35, v34
	v_fma_f32 v35, v127, s16, -v222
	v_add_f32_e32 v34, v35, v34
	v_fma_f32 v35, v129, s15, -v223
	v_add_f32_e32 v34, v35, v34
	v_fma_f32 v35, v131, s11, -v224
	v_fmac_f32_e32 v183, 0xbf65296c, v150
	buffer_load_dword v211, off, s[20:23], 0 ; 4-byte Folded Reload
	v_add_f32_e32 v209, v35, v34
	v_add_f32_e32 v34, v33, v183
	v_fmac_f32_e32 v184, 0xbf4c4adb, v153
	v_add_f32_e32 v34, v184, v34
	v_fmac_f32_e32 v185, 0x3e3c28d5, v158
	;; [unrolled: 2-line block ×7, first 2 shown]
	v_add_f32_e32 v184, v190, v34
	v_mul_f32_e32 v34, 0xbf65296c, v141
	v_fma_f32 v34, v44, s12, -v34
	v_mul_f32_e32 v35, 0xbf4c4adb, v144
	v_add_f32_e32 v34, v32, v34
	v_fma_f32 v35, v45, s15, -v35
	v_add_f32_e32 v34, v35, v34
	v_mul_f32_e32 v35, 0x3e3c28d5, v147
	v_fma_f32 v35, v60, s17, -v35
	v_add_f32_e32 v34, v35, v34
	v_mul_f32_e32 v35, 0x3f763a35, v151
	;; [unrolled: 3-line block ×5, first 2 shown]
	v_fma_f32 v35, v129, s13, -v35
	v_add_f32_e32 v34, v35, v34
	v_fma_f32 v35, v131, s16, -v198
	v_add_f32_e32 v183, v35, v34
	v_mul_f32_e32 v34, 0xbf2c7751, v150
	v_mov_b32_e32 v35, v34
	v_mul_f32_e32 v102, 0xbf7ee86f, v153
	v_fmac_f32_e32 v35, 0x3f3d2fb0, v59
	v_mov_b32_e32 v103, v102
	v_add_f32_e32 v35, v33, v35
	v_fmac_f32_e32 v103, 0x3dbcf732, v61
	v_add_f32_e32 v35, v103, v35
	v_mul_f32_e32 v103, 0xbf4c4adb, v158
	v_mov_b32_e32 v150, v103
	v_fmac_f32_e32 v150, 0xbf1a4643, v126
	v_add_f32_e32 v35, v150, v35
	v_mul_f32_e32 v150, 0xbe3c28d5, v161
	v_mov_b32_e32 v153, v150
	;; [unrolled: 4-line block ×3, first 2 shown]
	v_mov_b32_e32 v165, v180
	v_fmac_f32_e32 v158, 0xbf59a7d5, v130
	v_mul_f32_e32 v161, 0x3f763a35, v172
	v_fmac_f32_e32 v165, 0xbf7ba420, v44
	v_add_f32_e32 v35, v158, v35
	v_mov_b32_e32 v158, v161
	v_add_f32_e32 v165, v32, v165
	v_fmac_f32_e32 v199, 0x3f6eb680, v45
	v_fmac_f32_e32 v158, 0xbe8c1d8e, v132
	v_mul_f32_e32 v162, 0x3f65296c, v181
	v_add_f32_e32 v165, v199, v165
	v_mov_b32_e32 v199, v191
	v_add_f32_e32 v35, v158, v35
	v_mov_b32_e32 v158, v162
	v_fmac_f32_e32 v199, 0xbf59a7d5, v60
	v_fmac_f32_e32 v158, 0x3ee437d1, v134
	v_mul_f32_e32 v163, 0x3eb8f4ab, v182
	v_add_f32_e32 v165, v199, v165
	v_mov_b32_e32 v199, v192
	v_add_f32_e32 v35, v158, v35
	v_mov_b32_e32 v158, v163
	v_fmac_f32_e32 v199, 0x3f3d2fb0, v62
	v_fmac_f32_e32 v158, 0x3f6eb680, v136
	v_add_f32_e32 v165, v199, v165
	v_mov_b32_e32 v199, v193
	v_add_f32_e32 v158, v158, v35
	v_mul_f32_e32 v35, 0xbf2c7751, v141
	v_fmac_f32_e32 v199, 0xbf1a4643, v63
	v_fma_f32 v141, v44, s11, -v35
	v_mul_f32_e32 v144, 0xbf7ee86f, v144
	v_add_f32_e32 v165, v199, v165
	v_mov_b32_e32 v199, v194
	v_add_f32_e32 v141, v32, v141
	v_fma_f32 v164, v45, s13, -v144
	v_mul_f32_e32 v147, 0xbf4c4adb, v147
	v_fmac_f32_e32 v199, 0x3ee437d1, v127
	v_add_f32_e32 v141, v164, v141
	v_fma_f32 v164, v60, s15, -v147
	v_mul_f32_e32 v151, 0xbe3c28d5, v151
	v_add_f32_e32 v165, v199, v165
	v_mov_b32_e32 v199, v195
	v_add_f32_e32 v141, v164, v141
	v_fma_f32 v164, v62, s17, -v151
	v_mul_f32_e32 v155, 0x3f06c442, v155
	v_fmac_f32_e32 v199, 0xbe8c1d8e, v129
	v_add_f32_e32 v141, v164, v141
	v_fma_f32 v164, v63, s16, -v155
	v_add_f32_e32 v165, v199, v165
	v_mov_b32_e32 v199, v196
	v_add_f32_e32 v141, v164, v141
	v_mul_f32_e32 v164, 0x3f763a35, v157
	v_fmac_f32_e32 v199, 0x3dbcf732, v131
	v_fma_f32 v157, v127, s14, -v164
	v_mul_f32_e32 v159, 0x3f65296c, v159
	v_add_f32_e32 v199, v199, v165
	v_add_f32_e32 v141, v157, v141
	v_fma_f32 v157, v129, s12, -v159
	v_mul_f32_e32 v165, 0x3eb8f4ab, v171
	v_add_f32_e32 v141, v157, v141
	v_fma_f32 v157, v131, s10, -v165
	v_add_f32_e32 v157, v157, v141
	v_mul_f32_e32 v141, 0x3f6eb680, v59
	v_add_f32_e32 v107, v33, v107
	v_add_f32_e32 v137, v137, v141
	v_mul_f32_e32 v141, 0x3f3d2fb0, v61
	v_add_f32_e32 v107, v107, v108
	v_add_f32_e32 v137, v33, v137
	;; [unrolled: 1-line block ×5, first 2 shown]
	v_mul_f32_e32 v139, 0x3ee437d1, v126
	v_add_f32_e32 v107, v107, v110
	v_add_f32_e32 v139, v142, v139
	v_add_f32_e32 v107, v107, v111
	v_add_f32_e32 v137, v139, v137
	v_mul_f32_e32 v139, 0x3dbcf732, v128
	v_add_f32_e32 v107, v107, v112
	v_add_f32_e32 v139, v145, v139
	v_add_f32_e32 v107, v107, v113
	v_add_f32_e32 v137, v139, v137
	;; [unrolled: 5-line block ×6, first 2 shown]
	v_mul_f32_e32 v137, 0x3f6eb680, v44
	v_add_f32_e32 v108, v107, v123
	v_add_f32_e32 v107, v32, v122
	v_sub_f32_e32 v133, v137, v133
	v_mul_f32_e32 v137, 0x3f3d2fb0, v45
	v_add_f32_e32 v107, v107, v124
	v_add_f32_e32 v133, v32, v133
	v_sub_f32_e32 v135, v137, v135
	v_add_f32_e32 v107, v107, v125
	v_add_f32_e32 v133, v135, v133
	v_mul_f32_e32 v135, 0x3ee437d1, v60
	v_add_f32_e32 v48, v107, v48
	v_sub_f32_e32 v135, v135, v138
	v_add_f32_e32 v48, v48, v49
	v_add_f32_e32 v133, v135, v133
	v_mul_f32_e32 v135, 0x3dbcf732, v62
	;; [unrolled: 5-line block ×3, first 2 shown]
	v_add_f32_e32 v48, v48, v56
	v_fma_f32 v34, v59, s11, -v34
	v_sub_f32_e32 v135, v135, v143
	v_add_f32_e32 v48, v48, v57
	v_add_f32_e32 v33, v33, v34
	v_fma_f32 v34, v61, s13, -v102
	v_add_f32_e32 v133, v135, v133
	v_mul_f32_e32 v135, 0xbf1a4643, v127
	v_add_f32_e32 v48, v48, v58
	v_add_f32_e32 v33, v34, v33
	v_fma_f32 v34, v126, s15, -v103
	v_sub_f32_e32 v135, v135, v146
	v_add_f32_e32 v46, v48, v46
	v_add_f32_e32 v33, v34, v33
	v_fma_f32 v34, v128, s17, -v150
	v_add_f32_e32 v133, v135, v133
	v_mul_f32_e32 v135, 0xbf59a7d5, v129
	v_add_f32_e32 v46, v46, v47
	;; [unrolled: 9-line block ×3, first 2 shown]
	v_add_f32_e32 v33, v34, v33
	v_fma_f32 v34, v134, s12, -v162
	v_sub_f32_e32 v135, v135, v154
	v_add_f32_e32 v46, v46, v54
	v_add_f32_e32 v33, v34, v33
	v_fma_f32 v34, v136, s10, -v163
	v_add_f32_e32 v138, v135, v133
	v_add_f32_e32 v107, v46, v55
	;; [unrolled: 1-line block ×3, first 2 shown]
	s_waitcnt vmcnt(0)
	v_lshl_add_u32 v34, v197, 3, v211
	ds_write_b64 v106, v[107:108]
	ds_write2_b64 v34, v[138:139], v[157:158] offset0:16 offset1:32
	ds_write2_b64 v34, v[183:184], v[209:210] offset0:48 offset1:64
	;; [unrolled: 1-line block ×6, first 2 shown]
	buffer_load_dword v38, off, s[20:23], 0 offset:4 ; 4-byte Folded Reload
	buffer_load_dword v39, off, s[20:23], 0 offset:8 ; 4-byte Folded Reload
	v_fmac_f32_e32 v35, 0x3f3d2fb0, v44
	v_add_f32_e32 v32, v32, v35
	v_fmac_f32_e32 v144, 0x3dbcf732, v45
	v_add_f32_e32 v32, v144, v32
	v_fmac_f32_e32 v147, 0xbf1a4643, v60
	v_add_f32_e32 v32, v147, v32
	v_fmac_f32_e32 v151, 0xbf7ba420, v62
	v_add_f32_e32 v32, v151, v32
	v_fmac_f32_e32 v155, 0xbf59a7d5, v63
	v_add_f32_e32 v32, v155, v32
	v_fmac_f32_e32 v164, 0xbe8c1d8e, v127
	v_add_f32_e32 v32, v164, v32
	v_fmac_f32_e32 v159, 0x3ee437d1, v129
	v_add_f32_e32 v32, v159, v32
	v_fmac_f32_e32 v165, 0x3f6eb680, v131
	v_add_f32_e32 v32, v165, v32
	s_waitcnt vmcnt(0)
	ds_write2_b64 v34, v[36:37], v[38:39] offset0:208 offset1:224
	v_add_u32_e32 v34, 0x400, v34
	ds_write2_b64 v34, v[32:33], v[99:100] offset0:112 offset1:128
.LBB0_5:
	s_or_b64 exec, exec, s[4:5]
	s_waitcnt lgkmcnt(0)
	s_barrier
	global_load_dwordx2 v[36:37], v[97:98], off offset:2176
	s_add_u32 s4, s8, 0x880
	s_addc_u32 s5, s9, 0
	global_load_dwordx2 v[38:39], v104, s[4:5] offset:136
	global_load_dwordx2 v[60:61], v104, s[4:5] offset:272
	;; [unrolled: 1-line block ×15, first 2 shown]
	ds_read2_b64 v[32:35], v101 offset1:17
	s_waitcnt vmcnt(15) lgkmcnt(0)
	v_mul_f32_e32 v40, v33, v37
	v_mul_f32_e32 v41, v32, v37
	v_fma_f32 v40, v32, v36, -v40
	v_fmac_f32_e32 v41, v33, v36
	s_waitcnt vmcnt(14)
	v_mul_f32_e32 v32, v35, v39
	v_mul_f32_e32 v33, v34, v39
	v_fma_f32 v32, v34, v38, -v32
	v_fmac_f32_e32 v33, v35, v38
	ds_write2_b64 v101, v[40:41], v[32:33] offset1:17
	ds_read2_b64 v[32:35], v101 offset0:34 offset1:51
	ds_read2_b64 v[36:39], v101 offset0:68 offset1:85
	;; [unrolled: 1-line block ×7, first 2 shown]
	s_waitcnt vmcnt(13) lgkmcnt(6)
	v_mul_f32_e32 v102, v33, v61
	v_mul_f32_e32 v129, v32, v61
	s_waitcnt vmcnt(12)
	v_mul_f32_e32 v103, v35, v63
	v_mul_f32_e32 v61, v34, v63
	s_waitcnt vmcnt(11) lgkmcnt(5)
	v_mul_f32_e32 v104, v37, v98
	v_mul_f32_e32 v63, v36, v98
	s_waitcnt vmcnt(10)
	v_mul_f32_e32 v130, v39, v107
	v_mul_f32_e32 v98, v38, v107
	;; [unrolled: 6-line block ×6, first 2 shown]
	s_waitcnt vmcnt(1) lgkmcnt(0)
	v_mul_f32_e32 v123, v57, v125
	v_fma_f32 v128, v32, v60, -v102
	v_fmac_f32_e32 v129, v33, v60
	v_fma_f32 v60, v34, v62, -v103
	v_fmac_f32_e32 v61, v35, v62
	v_mul_f32_e32 v33, v56, v125
	s_waitcnt vmcnt(0)
	v_mul_f32_e32 v34, v59, v127
	v_mul_f32_e32 v35, v58, v127
	v_fma_f32 v62, v36, v97, -v104
	v_fmac_f32_e32 v63, v37, v97
	v_fma_f32 v32, v56, v124, -v123
	v_fmac_f32_e32 v33, v57, v124
	;; [unrolled: 2-line block ×12, first 2 shown]
	ds_write2_b64 v101, v[128:129], v[60:61] offset0:34 offset1:51
	ds_write2_b64 v101, v[62:63], v[97:98] offset0:68 offset1:85
	;; [unrolled: 1-line block ×7, first 2 shown]
	s_waitcnt lgkmcnt(0)
	s_barrier
	ds_read2_b64 v[32:35], v101 offset1:17
	ds_read2_b64 v[36:39], v101 offset0:34 offset1:51
	ds_read2_b64 v[40:43], v101 offset0:68 offset1:85
	;; [unrolled: 1-line block ×7, first 2 shown]
	s_waitcnt lgkmcnt(4)
	v_sub_f32_e32 v44, v32, v44
	v_sub_f32_e32 v45, v33, v45
	s_waitcnt lgkmcnt(2)
	v_sub_f32_e32 v52, v36, v52
	s_waitcnt lgkmcnt(1)
	v_sub_f32_e32 v56, v40, v56
	v_sub_f32_e32 v57, v41, v57
	v_fma_f32 v40, v40, 2.0, -v56
	v_fma_f32 v41, v41, 2.0, -v57
	v_sub_f32_e32 v53, v37, v53
	s_waitcnt lgkmcnt(0)
	v_sub_f32_e32 v60, v48, v60
	v_sub_f32_e32 v61, v49, v61
	;; [unrolled: 1-line block ×6, first 2 shown]
	v_add_f32_e32 v57, v44, v57
	v_sub_f32_e32 v56, v45, v56
	v_fma_f32 v32, v32, 2.0, -v44
	v_fma_f32 v33, v33, 2.0, -v45
	;; [unrolled: 1-line block ×6, first 2 shown]
	v_sub_f32_e32 v54, v38, v54
	v_sub_f32_e32 v55, v39, v55
	;; [unrolled: 1-line block ×4, first 2 shown]
	v_fma_f32 v44, v44, 2.0, -v57
	v_fma_f32 v45, v45, 2.0, -v56
	v_add_f32_e32 v61, v52, v61
	v_sub_f32_e32 v60, v53, v60
	v_add_f32_e32 v59, v46, v59
	v_sub_f32_e32 v58, v47, v58
	v_fma_f32 v36, v36, 2.0, -v52
	v_fma_f32 v37, v37, 2.0, -v53
	v_fma_f32 v34, v34, 2.0, -v46
	v_fma_f32 v35, v35, 2.0, -v47
	v_fma_f32 v50, v50, 2.0, -v62
	v_fma_f32 v51, v51, 2.0, -v63
	v_fma_f32 v52, v52, 2.0, -v61
	v_fma_f32 v53, v53, 2.0, -v60
	v_fma_f32 v46, v46, 2.0, -v59
	v_fma_f32 v47, v47, 2.0, -v58
	v_add_f32_e32 v63, v54, v63
	v_sub_f32_e32 v62, v55, v62
	v_mov_b32_e32 v102, v44
	v_mov_b32_e32 v103, v45
	v_fma_f32 v38, v38, 2.0, -v54
	v_fma_f32 v39, v39, 2.0, -v55
	v_fma_f32 v54, v54, 2.0, -v63
	v_fma_f32 v55, v55, 2.0, -v62
	v_fmac_f32_e32 v102, 0xbf3504f3, v52
	v_fmac_f32_e32 v103, 0xbf3504f3, v53
	v_mov_b32_e32 v109, v46
	v_mov_b32_e32 v110, v47
	v_sub_f32_e32 v40, v32, v40
	v_sub_f32_e32 v41, v33, v41
	;; [unrolled: 1-line block ×8, first 2 shown]
	v_fmac_f32_e32 v102, 0x3f3504f3, v53
	v_fmac_f32_e32 v103, 0xbf3504f3, v52
	v_mov_b32_e32 v107, v57
	v_mov_b32_e32 v108, v56
	v_fmac_f32_e32 v109, 0xbf3504f3, v54
	v_fmac_f32_e32 v110, 0xbf3504f3, v55
	v_fma_f32 v34, v34, 2.0, -v42
	v_fma_f32 v35, v35, 2.0, -v43
	;; [unrolled: 1-line block ×6, first 2 shown]
	v_add_f32_e32 v104, v40, v49
	v_sub_f32_e32 v106, v41, v48
	v_fmac_f32_e32 v107, 0x3f3504f3, v61
	v_fmac_f32_e32 v108, 0x3f3504f3, v60
	v_fmac_f32_e32 v109, 0x3f3504f3, v55
	v_fmac_f32_e32 v110, 0xbf3504f3, v54
	v_fma_f32 v32, v32, 2.0, -v40
	v_fma_f32 v33, v33, 2.0, -v41
	;; [unrolled: 1-line block ×6, first 2 shown]
	v_fmac_f32_e32 v107, 0x3f3504f3, v60
	v_fmac_f32_e32 v108, 0xbf3504f3, v61
	v_sub_f32_e32 v60, v34, v38
	v_sub_f32_e32 v61, v35, v39
	v_fma_f32 v40, v46, 2.0, -v109
	v_fma_f32 v41, v47, 2.0, -v110
	v_mov_b32_e32 v38, v44
	v_mov_b32_e32 v39, v45
	v_add_f32_e32 v46, v42, v51
	v_sub_f32_e32 v47, v43, v50
	v_mov_b32_e32 v111, v59
	v_mov_b32_e32 v112, v58
	v_fmac_f32_e32 v38, 0xbf6c835e, v40
	v_fmac_f32_e32 v39, 0xbf6c835e, v41
	v_fma_f32 v42, v42, 2.0, -v46
	v_fma_f32 v43, v43, 2.0, -v47
	v_fmac_f32_e32 v111, 0x3f3504f3, v63
	v_fmac_f32_e32 v112, 0x3f3504f3, v62
	v_fmac_f32_e32 v38, 0x3ec3ef15, v41
	v_fmac_f32_e32 v39, 0xbec3ef15, v40
	v_mov_b32_e32 v40, v48
	v_mov_b32_e32 v41, v49
	v_fma_f32 v57, v57, 2.0, -v107
	v_fma_f32 v56, v56, 2.0, -v108
	v_fmac_f32_e32 v111, 0x3f3504f3, v62
	v_fmac_f32_e32 v112, 0xbf3504f3, v63
	;; [unrolled: 1-line block ×4, first 2 shown]
	v_fma_f32 v50, v59, 2.0, -v111
	v_fma_f32 v51, v58, 2.0, -v112
	v_fmac_f32_e32 v40, 0x3f3504f3, v43
	v_fmac_f32_e32 v41, 0xbf3504f3, v42
	v_mov_b32_e32 v42, v57
	v_mov_b32_e32 v43, v56
	v_fmac_f32_e32 v42, 0xbec3ef15, v50
	v_fmac_f32_e32 v43, 0xbec3ef15, v51
	v_sub_f32_e32 v97, v32, v36
	v_sub_f32_e32 v98, v33, v37
	v_fmac_f32_e32 v42, 0x3f6c835e, v51
	v_fmac_f32_e32 v43, 0xbf6c835e, v50
	v_fma_f32 v34, v34, 2.0, -v60
	v_fma_f32 v35, v35, 2.0, -v61
	;; [unrolled: 1-line block ×4, first 2 shown]
	v_add_f32_e32 v56, v97, v61
	v_sub_f32_e32 v57, v98, v60
	v_mov_b32_e32 v58, v102
	v_mov_b32_e32 v59, v103
	;; [unrolled: 1-line block ×6, first 2 shown]
	v_fma_f32 v32, v32, 2.0, -v97
	v_fma_f32 v33, v33, 2.0, -v98
	v_fmac_f32_e32 v58, 0x3ec3ef15, v109
	v_fmac_f32_e32 v59, 0x3ec3ef15, v110
	;; [unrolled: 1-line block ×6, first 2 shown]
	v_sub_f32_e32 v36, v32, v34
	v_sub_f32_e32 v37, v33, v35
	v_fmac_f32_e32 v58, 0x3f6c835e, v110
	v_fmac_f32_e32 v59, 0xbf6c835e, v109
	;; [unrolled: 1-line block ×6, first 2 shown]
	v_fma_f32 v32, v32, 2.0, -v36
	v_fma_f32 v33, v33, 2.0, -v37
	;; [unrolled: 1-line block ×14, first 2 shown]
	s_barrier
	ds_write_b128 v105, v[32:35]
	ds_write_b128 v105, v[52:55] offset:16
	ds_write_b128 v105, v[48:51] offset:32
	;; [unrolled: 1-line block ×7, first 2 shown]
	s_waitcnt lgkmcnt(0)
	s_barrier
	s_and_saveexec_b64 s[4:5], vcc
	s_cbranch_execz .LBB0_7
; %bb.6:
	ds_read2_b64 v[32:35], v101 offset1:16
	ds_read2_b64 v[52:55], v101 offset0:32 offset1:48
	ds_read2_b64 v[48:51], v101 offset0:64 offset1:80
	;; [unrolled: 1-line block ×7, first 2 shown]
	ds_read_b64 v[99:100], v101 offset:2048
.LBB0_7:
	s_or_b64 exec, exec, s[4:5]
	s_and_saveexec_b64 s[4:5], vcc
	s_cbranch_execz .LBB0_9
; %bb.8:
	s_waitcnt lgkmcnt(8)
	v_mul_f32_e32 v104, v21, v35
	s_waitcnt lgkmcnt(0)
	v_mul_f32_e32 v98, v31, v100
	v_fmac_f32_e32 v104, v20, v34
	v_fmac_f32_e32 v98, v30, v99
	v_sub_f32_e32 v97, v104, v98
	v_mul_f32_e32 v31, v31, v99
	v_mul_f32_e32 v21, v21, v34
	;; [unrolled: 1-line block ×3, first 2 shown]
	v_fma_f32 v31, v30, v100, -v31
	v_fma_f32 v35, v20, v35, -v21
	v_add_f32_e32 v99, v31, v35
	v_mov_b32_e32 v20, v112
	v_mul_f32_e32 v34, v23, v53
	v_mul_f32_e32 v30, v29, v63
	v_fmac_f32_e32 v20, 0x3ee437d1, v99
	v_fmac_f32_e32 v34, v22, v52
	;; [unrolled: 1-line block ×3, first 2 shown]
	v_add_f32_e32 v21, v33, v20
	v_sub_f32_e32 v20, v34, v30
	v_mul_f32_e32 v29, v29, v62
	v_mul_f32_e32 v23, v23, v52
	;; [unrolled: 1-line block ×3, first 2 shown]
	v_fma_f32 v28, v28, v63, -v29
	v_fma_f32 v29, v22, v53, -v23
	v_add_f32_e32 v62, v28, v29
	v_mov_b32_e32 v22, v115
	v_fmac_f32_e32 v22, 0xbf1a4643, v62
	v_add_f32_e32 v52, v22, v21
	v_mul_f32_e32 v23, v13, v55
	v_mul_f32_e32 v22, v27, v61
	v_fmac_f32_e32 v23, v12, v54
	v_fmac_f32_e32 v22, v26, v60
	v_sub_f32_e32 v21, v23, v22
	v_mul_f32_e32 v27, v27, v60
	v_mul_f32_e32 v13, v13, v54
	;; [unrolled: 1-line block ×3, first 2 shown]
	v_fma_f32 v27, v26, v61, -v27
	v_fma_f32 v53, v12, v55, -v13
	v_add_f32_e32 v60, v27, v53
	v_mov_b32_e32 v12, v116
	v_fmac_f32_e32 v12, 0xbf7ba420, v60
	v_add_f32_e32 v13, v12, v52
	v_mul_f32_e32 v52, v15, v49
	v_mul_f32_e32 v26, v25, v59
	v_fmac_f32_e32 v52, v14, v48
	v_fmac_f32_e32 v26, v24, v58
	v_sub_f32_e32 v12, v52, v26
	v_mul_f32_e32 v25, v25, v58
	v_mul_f32_e32 v15, v15, v48
	;; [unrolled: 1-line block ×3, first 2 shown]
	v_fma_f32 v25, v24, v59, -v25
	v_fma_f32 v49, v14, v49, -v15
	v_add_f32_e32 v58, v25, v49
	v_mov_b32_e32 v14, v117
	v_mul_f32_e32 v48, v5, v51
	v_mul_f32_e32 v24, v19, v57
	v_fmac_f32_e32 v14, 0xbe8c1d8e, v58
	v_fmac_f32_e32 v48, v4, v50
	;; [unrolled: 1-line block ×3, first 2 shown]
	v_add_f32_e32 v14, v14, v13
	v_sub_f32_e32 v13, v48, v24
	v_mul_f32_e32 v15, v19, v56
	v_mul_f32_e32 v5, v5, v50
	;; [unrolled: 1-line block ×3, first 2 shown]
	v_fma_f32 v54, v18, v57, -v15
	v_fma_f32 v55, v4, v51, -v5
	v_add_f32_e32 v61, v54, v55
	v_mov_b32_e32 v4, v118
	v_mul_f32_e32 v51, v7, v45
	v_mul_f32_e32 v50, v17, v43
	v_fmac_f32_e32 v4, 0x3f3d2fb0, v61
	v_fmac_f32_e32 v51, v6, v44
	;; [unrolled: 1-line block ×3, first 2 shown]
	v_mul_f32_e32 v5, v17, v42
	v_add_f32_e32 v4, v4, v14
	v_sub_f32_e32 v14, v51, v50
	v_fma_f32 v56, v16, v43, -v5
	v_mul_f32_e32 v5, v7, v44
	v_mul_f32_e32 v119, 0xbeb8f4ab, v14
	v_fma_f32 v44, v6, v45, -v5
	v_add_f32_e32 v63, v56, v44
	v_mov_b32_e32 v5, v119
	v_fmac_f32_e32 v5, 0x3f6eb680, v63
	v_add_f32_e32 v4, v5, v4
	v_mul_f32_e32 v42, v1, v47
	v_mul_f32_e32 v43, v11, v41
	;; [unrolled: 1-line block ×3, first 2 shown]
	v_fmac_f32_e32 v42, v0, v46
	v_fmac_f32_e32 v43, v10, v40
	v_fma_f32 v57, v10, v41, -v5
	v_mul_f32_e32 v1, v1, v46
	v_mul_f32_e32 v41, v3, v37
	;; [unrolled: 1-line block ×3, first 2 shown]
	v_sub_f32_e32 v15, v42, v43
	v_fma_f32 v46, v0, v47, -v1
	v_fmac_f32_e32 v41, v2, v36
	v_fmac_f32_e32 v45, v8, v38
	v_mul_f32_e32 v1, v9, v38
	v_mul_f32_e32 v120, 0xbf7ee86f, v15
	v_sub_f32_e32 v16, v41, v45
	v_fma_f32 v47, v8, v39, -v1
	v_mul_f32_e32 v1, v3, v36
	v_add_f32_e32 v100, v57, v46
	v_mov_b32_e32 v0, v120
	v_mul_f32_e32 v121, 0xbf06c442, v16
	v_fma_f32 v59, v2, v37, -v1
	v_fmac_f32_e32 v0, 0x3dbcf732, v100
	v_add_f32_e32 v105, v47, v59
	v_mov_b32_e32 v1, v121
	v_sub_f32_e32 v106, v35, v31
	s_mov_b32 s8, 0x3ee437d1
	v_add_f32_e32 v0, v0, v4
	v_fmac_f32_e32 v1, 0xbf59a7d5, v105
	v_add_f32_e32 v17, v98, v104
	v_mul_f32_e32 v122, 0xbf65296c, v106
	v_sub_f32_e32 v107, v29, v28
	s_mov_b32 s9, 0xbf1a4643
	v_add_f32_e32 v1, v1, v0
	v_fma_f32 v0, v17, s8, -v122
	v_add_f32_e32 v18, v30, v34
	v_mul_f32_e32 v123, 0xbf4c4adb, v107
	v_sub_f32_e32 v108, v53, v27
	s_mov_b32 s10, 0xbf7ba420
	v_add_f32_e32 v0, v32, v0
	v_fma_f32 v2, v18, s9, -v123
	;; [unrolled: 6-line block ×7, first 2 shown]
	v_add_f32_e32 v40, v45, v41
	v_mul_f32_e32 v129, 0xbf06c442, v114
	v_add_f32_e32 v0, v2, v0
	v_fma_f32 v2, v40, s15, -v129
	v_mul_f32_e32 v102, 0xbf7ee86f, v97
	v_add_f32_e32 v0, v2, v0
	v_mov_b32_e32 v2, v102
	v_mul_f32_e32 v103, 0xbe3c28d5, v20
	v_fmac_f32_e32 v2, 0x3dbcf732, v99
	v_mov_b32_e32 v3, v103
	v_add_f32_e32 v2, v33, v2
	v_fmac_f32_e32 v3, 0xbf7ba420, v62
	v_mul_f32_e32 v138, 0x3f763a35, v21
	v_add_f32_e32 v2, v3, v2
	v_mov_b32_e32 v3, v138
	v_fmac_f32_e32 v3, 0xbe8c1d8e, v60
	v_mul_f32_e32 v139, 0x3eb8f4ab, v12
	v_add_f32_e32 v2, v3, v2
	v_mov_b32_e32 v3, v139
	;; [unrolled: 4-line block ×6, first 2 shown]
	v_fmac_f32_e32 v3, 0x3f3d2fb0, v105
	v_mul_f32_e32 v144, 0xbf7ee86f, v106
	v_add_f32_e32 v3, v3, v2
	v_fma_f32 v2, v17, s14, -v144
	v_mul_f32_e32 v145, 0xbe3c28d5, v107
	v_add_f32_e32 v2, v32, v2
	v_fma_f32 v4, v18, s10, -v145
	v_mul_f32_e32 v146, 0x3f763a35, v108
	v_add_f32_e32 v2, v4, v2
	v_fma_f32 v4, v19, s11, -v146
	v_mul_f32_e32 v147, 0x3eb8f4ab, v109
	v_add_f32_e32 v2, v4, v2
	v_fma_f32 v4, v36, s13, -v147
	v_mul_f32_e32 v148, 0xbf65296c, v110
	v_add_f32_e32 v2, v4, v2
	v_fma_f32 v4, v37, s8, -v148
	v_mul_f32_e32 v149, 0xbf06c442, v111
	v_add_f32_e32 v2, v4, v2
	v_fma_f32 v4, v38, s15, -v149
	v_mul_f32_e32 v150, 0x3f4c4adb, v113
	v_add_f32_e32 v2, v4, v2
	v_fma_f32 v4, v39, s9, -v150
	v_mul_f32_e32 v151, 0x3f2c7751, v114
	v_add_f32_e32 v2, v4, v2
	v_fma_f32 v4, v40, s12, -v151
	v_mul_f32_e32 v136, 0xbf763a35, v97
	v_add_f32_e32 v2, v4, v2
	v_mov_b32_e32 v4, v136
	v_mul_f32_e32 v137, 0x3f06c442, v20
	v_fmac_f32_e32 v4, 0xbe8c1d8e, v99
	v_mov_b32_e32 v5, v137
	v_add_f32_e32 v4, v33, v4
	v_fmac_f32_e32 v5, 0xbf59a7d5, v62
	v_mul_f32_e32 v152, 0x3f2c7751, v21
	v_add_f32_e32 v4, v5, v4
	v_mov_b32_e32 v5, v152
	v_fma_f32 v102, v99, s14, -v102
	v_fmac_f32_e32 v5, 0x3f3d2fb0, v60
	v_mul_f32_e32 v153, 0xbf65296c, v12
	v_add_f32_e32 v102, v33, v102
	v_fma_f32 v103, v62, s10, -v103
	v_add_f32_e32 v4, v5, v4
	v_mov_b32_e32 v5, v153
	v_add_f32_e32 v102, v103, v102
	v_fma_f32 v103, v60, s11, -v138
	v_fmac_f32_e32 v5, 0x3ee437d1, v58
	v_mul_f32_e32 v154, 0xbe3c28d5, v13
	v_add_f32_e32 v102, v103, v102
	v_fma_f32 v103, v58, s13, -v139
	v_add_f32_e32 v4, v5, v4
	v_mov_b32_e32 v5, v154
	v_add_f32_e32 v102, v103, v102
	;; [unrolled: 8-line block ×3, first 2 shown]
	v_fma_f32 v103, v100, s9, -v142
	v_fmac_f32_e32 v5, 0x3dbcf732, v63
	v_mul_f32_e32 v156, 0xbeb8f4ab, v15
	v_add_f32_e32 v102, v103, v102
	v_fma_f32 v103, v105, s12, -v143
	v_fmac_f32_e32 v144, 0x3dbcf732, v17
	v_add_f32_e32 v4, v5, v4
	v_mov_b32_e32 v5, v156
	v_add_f32_e32 v139, v103, v102
	v_add_f32_e32 v102, v32, v144
	v_fmac_f32_e32 v145, 0xbf7ba420, v18
	v_fmac_f32_e32 v5, 0x3f6eb680, v100
	v_mul_f32_e32 v157, 0xbf4c4adb, v16
	v_add_f32_e32 v102, v145, v102
	v_fmac_f32_e32 v146, 0xbe8c1d8e, v19
	v_add_f32_e32 v4, v5, v4
	v_mov_b32_e32 v5, v157
	v_add_f32_e32 v102, v146, v102
	v_fmac_f32_e32 v147, 0x3f6eb680, v36
	v_fmac_f32_e32 v5, 0xbf1a4643, v105
	v_mul_f32_e32 v158, 0xbf763a35, v106
	v_add_f32_e32 v102, v147, v102
	v_fmac_f32_e32 v148, 0x3ee437d1, v37
	v_add_f32_e32 v5, v5, v4
	v_fma_f32 v4, v17, s11, -v158
	v_mul_f32_e32 v159, 0x3f06c442, v107
	v_add_f32_e32 v102, v148, v102
	v_fmac_f32_e32 v149, 0xbf59a7d5, v38
	v_add_f32_e32 v4, v32, v4
	v_fma_f32 v6, v18, s15, -v159
	;; [unrolled: 5-line block ×4, first 2 shown]
	v_mul_f32_e32 v162, 0xbe3c28d5, v110
	v_add_f32_e32 v138, v151, v102
	v_fma_f32 v102, v99, s8, -v112
	v_add_f32_e32 v4, v6, v4
	v_fma_f32 v6, v37, s10, -v162
	v_mul_f32_e32 v163, 0x3f7ee86f, v111
	v_add_f32_e32 v102, v33, v102
	v_fma_f32 v103, v62, s9, -v115
	v_add_f32_e32 v4, v6, v4
	v_fma_f32 v6, v38, s14, -v163
	;; [unrolled: 5-line block ×4, first 2 shown]
	v_mul_f32_e32 v134, 0xbf4c4adb, v97
	v_add_f32_e32 v102, v103, v102
	v_fma_f32 v103, v61, s12, -v118
	v_add_f32_e32 v4, v6, v4
	v_mov_b32_e32 v6, v134
	v_mul_f32_e32 v135, 0x3f763a35, v20
	v_add_f32_e32 v102, v103, v102
	v_fma_f32 v103, v63, s13, -v119
	v_fmac_f32_e32 v6, 0xbf1a4643, v99
	v_mov_b32_e32 v7, v135
	v_add_f32_e32 v102, v103, v102
	v_fma_f32 v103, v100, s14, -v120
	v_add_f32_e32 v6, v33, v6
	v_fmac_f32_e32 v7, 0xbe8c1d8e, v62
	v_mul_f32_e32 v166, 0xbeb8f4ab, v21
	v_add_f32_e32 v102, v103, v102
	v_fma_f32 v103, v105, s15, -v121
	v_fmac_f32_e32 v122, 0x3ee437d1, v17
	v_add_f32_e32 v6, v7, v6
	v_mov_b32_e32 v7, v166
	v_add_f32_e32 v116, v103, v102
	v_add_f32_e32 v102, v32, v122
	v_fmac_f32_e32 v123, 0xbf1a4643, v18
	v_fmac_f32_e32 v7, 0x3f6eb680, v60
	v_mul_f32_e32 v167, 0xbf06c442, v12
	v_add_f32_e32 v102, v123, v102
	v_fmac_f32_e32 v124, 0xbf7ba420, v19
	v_add_f32_e32 v6, v7, v6
	v_mov_b32_e32 v7, v167
	v_add_f32_e32 v102, v124, v102
	v_fmac_f32_e32 v125, 0xbe8c1d8e, v36
	v_fmac_f32_e32 v7, 0xbf59a7d5, v58
	v_mul_f32_e32 v168, 0x3f7ee86f, v13
	v_add_f32_e32 v102, v125, v102
	v_fmac_f32_e32 v126, 0x3f3d2fb0, v37
	v_add_f32_e32 v6, v7, v6
	v_mov_b32_e32 v7, v168
	;; [unrolled: 8-line block ×3, first 2 shown]
	v_add_f32_e32 v102, v128, v102
	v_fmac_f32_e32 v129, 0xbf59a7d5, v40
	v_fmac_f32_e32 v7, 0x3f3d2fb0, v63
	v_mul_f32_e32 v170, 0xbe3c28d5, v15
	v_add_f32_e32 v115, v129, v102
	v_mul_f32_e32 v102, 0x3f3d2fb0, v99
	v_add_f32_e32 v6, v7, v6
	v_mov_b32_e32 v7, v170
	v_mov_b32_e32 v103, v102
	v_mul_f32_e32 v112, 0x3dbcf732, v62
	v_fmac_f32_e32 v7, 0xbf7ba420, v100
	v_mul_f32_e32 v171, 0x3f65296c, v16
	v_fmac_f32_e32 v103, 0x3f2c7751, v97
	v_mov_b32_e32 v117, v112
	v_add_f32_e32 v6, v7, v6
	v_mov_b32_e32 v7, v171
	v_add_f32_e32 v103, v33, v103
	v_fmac_f32_e32 v117, 0x3f7ee86f, v20
	v_mul_f32_e32 v119, 0xbf1a4643, v60
	v_fmac_f32_e32 v7, 0x3ee437d1, v105
	v_mul_f32_e32 v172, 0xbf4c4adb, v106
	v_add_f32_e32 v103, v117, v103
	v_mov_b32_e32 v117, v119
	v_add_f32_e32 v7, v7, v6
	v_fma_f32 v6, v17, s9, -v172
	v_mul_f32_e32 v173, 0x3f763a35, v107
	v_fmac_f32_e32 v117, 0x3f4c4adb, v21
	v_mul_f32_e32 v120, 0xbf7ba420, v58
	v_add_f32_e32 v6, v32, v6
	v_fma_f32 v8, v18, s11, -v173
	v_mul_f32_e32 v174, 0xbeb8f4ab, v108
	v_add_f32_e32 v103, v117, v103
	v_mov_b32_e32 v117, v120
	v_add_f32_e32 v6, v8, v6
	v_fma_f32 v8, v19, s13, -v174
	v_mul_f32_e32 v175, 0xbf06c442, v109
	v_fmac_f32_e32 v117, 0x3e3c28d5, v12
	v_mul_f32_e32 v121, 0xbf59a7d5, v61
	v_add_f32_e32 v6, v8, v6
	v_fma_f32 v8, v36, s15, -v175
	;; [unrolled: 10-line block ×4, first 2 shown]
	v_mul_f32_e32 v132, 0xbf06c442, v97
	v_add_f32_e32 v103, v117, v103
	v_mov_b32_e32 v117, v123
	v_add_f32_e32 v35, v35, v33
	v_add_f32_e32 v6, v8, v6
	v_mov_b32_e32 v8, v132
	v_mul_f32_e32 v133, 0x3f65296c, v20
	v_fmac_f32_e32 v117, 0xbf65296c, v15
	v_mul_f32_e32 v124, 0x3f6eb680, v105
	v_add_f32_e32 v29, v29, v35
	v_fmac_f32_e32 v8, 0xbf59a7d5, v99
	v_mov_b32_e32 v9, v133
	v_add_f32_e32 v103, v117, v103
	v_mov_b32_e32 v117, v124
	v_add_f32_e32 v29, v53, v29
	v_add_f32_e32 v8, v33, v8
	v_fmac_f32_e32 v9, 0x3ee437d1, v62
	v_mul_f32_e32 v180, 0xbf7ee86f, v21
	v_fmac_f32_e32 v117, 0xbeb8f4ab, v16
	v_add_f32_e32 v29, v49, v29
	v_add_f32_e32 v8, v9, v8
	v_mov_b32_e32 v9, v180
	v_add_f32_e32 v118, v117, v103
	v_mul_f32_e32 v103, 0xbf2c7751, v106
	v_add_f32_e32 v29, v55, v29
	v_fmac_f32_e32 v9, 0x3dbcf732, v60
	v_mul_f32_e32 v181, 0x3f4c4adb, v12
	v_mov_b32_e32 v117, v103
	v_mul_f32_e32 v125, 0xbf7ee86f, v107
	v_add_f32_e32 v29, v44, v29
	v_add_f32_e32 v8, v9, v8
	v_mov_b32_e32 v9, v181
	v_fmac_f32_e32 v117, 0x3f3d2fb0, v17
	v_mov_b32_e32 v126, v125
	v_add_f32_e32 v29, v46, v29
	v_fmac_f32_e32 v9, 0xbf1a4643, v58
	v_mul_f32_e32 v182, 0xbeb8f4ab, v13
	v_add_f32_e32 v117, v32, v117
	v_fmac_f32_e32 v126, 0x3dbcf732, v18
	v_add_f32_e32 v29, v59, v29
	v_add_f32_e32 v8, v9, v8
	v_mov_b32_e32 v9, v182
	v_add_f32_e32 v117, v126, v117
	v_mul_f32_e32 v126, 0xbf4c4adb, v108
	v_add_f32_e32 v29, v47, v29
	v_fmac_f32_e32 v9, 0x3f6eb680, v61
	v_mul_f32_e32 v183, 0xbe3c28d5, v14
	v_mov_b32_e32 v127, v126
	v_add_f32_e32 v29, v57, v29
	v_add_f32_e32 v8, v9, v8
	v_mov_b32_e32 v9, v183
	v_fmac_f32_e32 v127, 0xbf1a4643, v19
	v_add_f32_e32 v29, v56, v29
	v_fmac_f32_e32 v9, 0xbf7ba420, v63
	v_mul_f32_e32 v184, 0x3f2c7751, v15
	v_add_f32_e32 v117, v127, v117
	v_mul_f32_e32 v127, 0xbe3c28d5, v109
	v_add_f32_e32 v29, v54, v29
	v_add_f32_e32 v8, v9, v8
	v_mov_b32_e32 v9, v184
	v_mov_b32_e32 v128, v127
	v_add_f32_e32 v25, v25, v29
	v_fmac_f32_e32 v9, 0x3f3d2fb0, v100
	v_mul_f32_e32 v185, 0xbf763a35, v16
	v_fmac_f32_e32 v128, 0xbf7ba420, v36
	v_add_f32_e32 v25, v27, v25
	v_add_f32_e32 v27, v32, v104
	;; [unrolled: 1-line block ×3, first 2 shown]
	v_mov_b32_e32 v9, v185
	v_add_f32_e32 v117, v128, v117
	v_mul_f32_e32 v128, 0x3f06c442, v110
	v_add_f32_e32 v27, v34, v27
	v_fmac_f32_e32 v9, 0xbe8c1d8e, v105
	v_mul_f32_e32 v186, 0xbf06c442, v106
	v_mov_b32_e32 v129, v128
	v_add_f32_e32 v23, v23, v27
	v_add_f32_e32 v9, v9, v8
	v_fma_f32 v8, v17, s15, -v186
	v_mul_f32_e32 v187, 0x3f65296c, v107
	v_fmac_f32_e32 v129, 0xbf59a7d5, v37
	v_add_f32_e32 v23, v52, v23
	v_add_f32_e32 v8, v32, v8
	v_fma_f32 v10, v18, s8, -v187
	v_mul_f32_e32 v188, 0xbf7ee86f, v108
	v_add_f32_e32 v117, v129, v117
	v_mul_f32_e32 v129, 0x3f763a35, v111
	v_add_f32_e32 v23, v48, v23
	v_add_f32_e32 v8, v10, v8
	v_fma_f32 v10, v19, s14, -v188
	v_mul_f32_e32 v189, 0x3f4c4adb, v109
	v_mov_b32_e32 v140, v129
	v_add_f32_e32 v23, v51, v23
	v_add_f32_e32 v8, v10, v8
	v_fma_f32 v10, v36, s9, -v189
	v_mul_f32_e32 v190, 0xbeb8f4ab, v110
	v_fmac_f32_e32 v140, 0xbe8c1d8e, v38
	v_add_f32_e32 v23, v42, v23
	v_add_f32_e32 v8, v10, v8
	v_fma_f32 v10, v37, s13, -v190
	v_mul_f32_e32 v191, 0xbe3c28d5, v111
	v_add_f32_e32 v117, v140, v117
	v_mul_f32_e32 v140, 0x3f65296c, v113
	v_add_f32_e32 v23, v41, v23
	v_add_f32_e32 v8, v10, v8
	v_fma_f32 v10, v38, s10, -v191
	v_mul_f32_e32 v192, 0x3f2c7751, v113
	v_mov_b32_e32 v141, v140
	v_add_f32_e32 v23, v45, v23
	v_add_f32_e32 v8, v10, v8
	v_fma_f32 v10, v39, s12, -v192
	v_mul_f32_e32 v193, 0xbf763a35, v114
	v_fmac_f32_e32 v141, 0x3ee437d1, v39
	v_add_f32_e32 v23, v43, v23
	v_add_f32_e32 v8, v10, v8
	v_fma_f32 v10, v40, s11, -v193
	v_mul_f32_e32 v130, 0xbe3c28d5, v97
	v_add_f32_e32 v117, v141, v117
	v_mul_f32_e32 v141, 0x3eb8f4ab, v114
	v_add_f32_e32 v23, v50, v23
	v_add_f32_e32 v8, v10, v8
	v_mov_b32_e32 v10, v130
	v_mul_f32_e32 v131, 0x3eb8f4ab, v20
	v_mov_b32_e32 v142, v141
	v_add_f32_e32 v23, v24, v23
	v_fmac_f32_e32 v10, 0xbf7ba420, v99
	v_mov_b32_e32 v11, v131
	v_fma_f32 v130, v99, s10, -v130
	v_fma_f32 v132, v99, s15, -v132
	;; [unrolled: 1-line block ×4, first 2 shown]
	v_fmac_f32_e32 v142, 0x3f6eb680, v40
	v_mul_f32_e32 v99, 0x3f6eb680, v99
	v_add_f32_e32 v23, v26, v23
	v_fmac_f32_e32 v11, 0x3f6eb680, v62
	v_fma_f32 v131, v62, s13, -v131
	v_fma_f32 v133, v62, s8, -v133
	;; [unrolled: 1-line block ×4, first 2 shown]
	v_add_f32_e32 v117, v142, v117
	v_mov_b32_e32 v142, v99
	v_mul_f32_e32 v62, 0x3f3d2fb0, v62
	v_add_f32_e32 v22, v22, v23
	v_add_f32_e32 v10, v33, v10
	v_mul_f32_e32 v194, 0xbf06c442, v21
	v_fmac_f32_e32 v142, 0x3eb8f4ab, v97
	v_mov_b32_e32 v143, v62
	v_add_f32_e32 v22, v30, v22
	v_fmac_f32_e32 v102, 0xbf2c7751, v97
	v_add_f32_e32 v10, v11, v10
	v_mov_b32_e32 v11, v194
	v_add_f32_e32 v142, v33, v142
	v_fmac_f32_e32 v143, 0x3f2c7751, v20
	v_add_f32_e32 v24, v98, v22
	v_add_f32_e32 v22, v33, v102
	v_fmac_f32_e32 v112, 0xbf7ee86f, v20
	v_fmac_f32_e32 v11, 0xbf59a7d5, v60
	v_mul_f32_e32 v195, 0x3f2c7751, v12
	v_add_f32_e32 v130, v33, v130
	v_add_f32_e32 v132, v33, v132
	;; [unrolled: 1-line block ×5, first 2 shown]
	v_mul_f32_e32 v143, 0x3ee437d1, v60
	v_add_f32_e32 v22, v112, v22
	v_fmac_f32_e32 v119, 0xbf4c4adb, v21
	v_add_f32_e32 v10, v11, v10
	v_mov_b32_e32 v11, v195
	v_add_f32_e32 v130, v131, v130
	v_fma_f32 v131, v60, s15, -v194
	v_add_f32_e32 v132, v133, v132
	v_fma_f32 v133, v60, s14, -v180
	;; [unrolled: 2-line block ×4, first 2 shown]
	v_mov_b32_e32 v60, v143
	v_add_f32_e32 v22, v119, v22
	v_fmac_f32_e32 v120, 0xbe3c28d5, v12
	v_fmac_f32_e32 v11, 0x3f3d2fb0, v58
	v_add_f32_e32 v130, v131, v130
	v_fma_f32 v131, v58, s12, -v195
	v_add_f32_e32 v132, v133, v132
	v_fma_f32 v133, v58, s9, -v181
	;; [unrolled: 2-line block ×4, first 2 shown]
	v_fmac_f32_e32 v60, 0x3f65296c, v21
	v_mul_f32_e32 v58, 0x3dbcf732, v58
	v_add_f32_e32 v22, v120, v22
	v_fmac_f32_e32 v121, 0x3f06c442, v13
	v_mul_f32_e32 v196, 0xbf4c4adb, v13
	v_add_f32_e32 v60, v60, v142
	v_mov_b32_e32 v142, v58
	v_add_f32_e32 v22, v121, v22
	v_fmac_f32_e32 v122, 0x3f763a35, v14
	v_add_f32_e32 v10, v11, v10
	v_mov_b32_e32 v11, v196
	v_fmac_f32_e32 v142, 0x3f7ee86f, v12
	v_add_f32_e32 v22, v122, v22
	v_fmac_f32_e32 v123, 0x3f65296c, v15
	v_fmac_f32_e32 v11, 0xbf1a4643, v61
	v_mul_f32_e32 v198, 0x3f65296c, v14
	v_add_f32_e32 v60, v142, v60
	v_mul_f32_e32 v142, 0xbe8c1d8e, v61
	v_add_f32_e32 v22, v123, v22
	v_fmac_f32_e32 v124, 0x3eb8f4ab, v16
	v_add_f32_e32 v10, v11, v10
	v_mov_b32_e32 v11, v198
	v_add_f32_e32 v130, v131, v130
	v_fma_f32 v131, v61, s9, -v196
	v_add_f32_e32 v132, v133, v132
	v_fma_f32 v133, v61, s13, -v182
	;; [unrolled: 2-line block ×4, first 2 shown]
	v_mov_b32_e32 v61, v142
	v_add_f32_e32 v23, v124, v22
	v_fma_f32 v22, v17, s12, -v103
	v_fmac_f32_e32 v11, 0x3ee437d1, v63
	v_mul_f32_e32 v199, 0xbf763a35, v15
	v_add_f32_e32 v130, v131, v130
	v_fma_f32 v131, v63, s8, -v198
	v_add_f32_e32 v132, v133, v132
	v_fma_f32 v133, v63, s10, -v183
	;; [unrolled: 2-line block ×4, first 2 shown]
	v_fmac_f32_e32 v61, 0x3f763a35, v13
	v_mul_f32_e32 v63, 0xbf1a4643, v63
	v_add_f32_e32 v22, v32, v22
	v_fma_f32 v26, v18, s14, -v125
	v_add_f32_e32 v10, v11, v10
	v_mov_b32_e32 v11, v199
	v_add_f32_e32 v60, v61, v60
	v_mov_b32_e32 v61, v63
	v_add_f32_e32 v22, v26, v22
	v_fma_f32 v26, v19, s9, -v126
	v_fmac_f32_e32 v11, 0xbe8c1d8e, v100
	v_mul_f32_e32 v200, 0x3f7ee86f, v16
	v_add_f32_e32 v130, v131, v130
	v_fma_f32 v131, v100, s11, -v199
	v_add_f32_e32 v132, v133, v132
	v_fma_f32 v133, v100, s12, -v184
	;; [unrolled: 2-line block ×4, first 2 shown]
	v_fmac_f32_e32 v61, 0x3f4c4adb, v14
	v_mul_f32_e32 v100, 0xbf59a7d5, v100
	v_add_f32_e32 v22, v26, v22
	v_fma_f32 v26, v36, s10, -v127
	v_add_f32_e32 v10, v11, v10
	v_mov_b32_e32 v11, v200
	v_add_f32_e32 v60, v61, v60
	v_mov_b32_e32 v61, v100
	v_add_f32_e32 v22, v26, v22
	v_fma_f32 v26, v37, s15, -v128
	v_fmac_f32_e32 v11, 0x3dbcf732, v105
	v_add_f32_e32 v130, v131, v130
	v_fma_f32 v131, v105, s14, -v200
	v_add_f32_e32 v132, v133, v132
	v_fma_f32 v133, v105, s11, -v185
	;; [unrolled: 2-line block ×4, first 2 shown]
	v_fmac_f32_e32 v61, 0x3f06c442, v15
	v_mul_f32_e32 v105, 0xbf7ba420, v105
	v_add_f32_e32 v22, v26, v22
	v_fma_f32 v26, v38, s11, -v129
	v_add_f32_e32 v60, v61, v60
	v_mov_b32_e32 v61, v105
	v_add_f32_e32 v22, v26, v22
	v_fma_f32 v26, v39, s8, -v140
	v_mul_f32_e32 v201, 0xbe3c28d5, v106
	v_fmac_f32_e32 v61, 0x3e3c28d5, v16
	v_mul_f32_e32 v106, 0xbeb8f4ab, v106
	v_add_f32_e32 v22, v26, v22
	v_fma_f32 v26, v40, s13, -v141
	v_fmac_f32_e32 v99, 0xbeb8f4ab, v97
	v_add_f32_e32 v11, v11, v10
	v_fma_f32 v10, v17, s10, -v201
	v_mul_f32_e32 v202, 0x3eb8f4ab, v107
	v_add_f32_e32 v61, v61, v60
	v_mov_b32_e32 v60, v106
	v_mul_f32_e32 v107, 0xbf2c7751, v107
	v_add_f32_e32 v22, v26, v22
	v_add_f32_e32 v26, v33, v99
	v_fmac_f32_e32 v62, 0xbf2c7751, v20
	v_add_f32_e32 v10, v32, v10
	v_fma_f32 v203, v18, s13, -v202
	v_fmac_f32_e32 v60, 0x3f6eb680, v17
	v_mov_b32_e32 v144, v107
	v_add_f32_e32 v20, v62, v26
	v_fmac_f32_e32 v143, 0xbf65296c, v21
	v_add_f32_e32 v10, v203, v10
	v_mul_f32_e32 v203, 0xbf06c442, v108
	v_add_f32_e32 v60, v32, v60
	v_fmac_f32_e32 v144, 0x3f3d2fb0, v18
	v_mul_f32_e32 v108, 0xbf65296c, v108
	v_add_f32_e32 v20, v143, v20
	v_fmac_f32_e32 v58, 0xbf7ee86f, v12
	v_fma_f32 v204, v19, s15, -v203
	v_add_f32_e32 v60, v144, v60
	v_mov_b32_e32 v144, v108
	v_add_f32_e32 v12, v58, v20
	v_fmac_f32_e32 v142, 0xbf763a35, v13
	v_add_f32_e32 v10, v204, v10
	v_mul_f32_e32 v204, 0x3f2c7751, v109
	v_fmac_f32_e32 v144, 0x3ee437d1, v19
	v_mul_f32_e32 v109, 0xbf7ee86f, v109
	v_add_f32_e32 v12, v142, v12
	v_fmac_f32_e32 v63, 0xbf4c4adb, v14
	v_fma_f32 v205, v36, s12, -v204
	v_add_f32_e32 v60, v144, v60
	v_mov_b32_e32 v144, v109
	v_add_f32_e32 v12, v63, v12
	v_fmac_f32_e32 v100, 0xbf06c442, v15
	v_add_f32_e32 v10, v205, v10
	v_mul_f32_e32 v205, 0xbf4c4adb, v110
	v_fmac_f32_e32 v144, 0x3dbcf732, v36
	v_mul_f32_e32 v110, 0xbf763a35, v110
	v_add_f32_e32 v12, v100, v12
	v_fmac_f32_e32 v105, 0xbe3c28d5, v16
	v_fma_f32 v206, v37, s9, -v205
	v_add_f32_e32 v60, v144, v60
	v_mov_b32_e32 v144, v110
	v_add_f32_e32 v13, v105, v12
	v_fma_f32 v12, v17, s13, -v106
	v_add_f32_e32 v10, v206, v10
	v_mul_f32_e32 v206, 0x3f65296c, v111
	v_fmac_f32_e32 v201, 0xbf7ba420, v17
	v_fmac_f32_e32 v186, 0xbf59a7d5, v17
	;; [unrolled: 1-line block ×5, first 2 shown]
	v_mul_f32_e32 v111, 0xbf4c4adb, v111
	v_add_f32_e32 v12, v32, v12
	v_fma_f32 v14, v18, s12, -v107
	v_fma_f32 v207, v38, s8, -v206
	v_add_f32_e32 v131, v131, v130
	v_add_f32_e32 v130, v32, v201
	v_fmac_f32_e32 v202, 0x3f6eb680, v18
	v_add_f32_e32 v133, v133, v132
	v_add_f32_e32 v132, v32, v186
	v_fmac_f32_e32 v187, 0x3ee437d1, v18
	;; [unrolled: 3-line block ×4, first 2 shown]
	v_add_f32_e32 v60, v144, v60
	v_mov_b32_e32 v144, v111
	v_add_f32_e32 v12, v14, v12
	v_fma_f32 v14, v19, s8, -v108
	v_add_f32_e32 v10, v207, v10
	v_mul_f32_e32 v207, 0xbf763a35, v113
	v_add_f32_e32 v130, v202, v130
	v_fmac_f32_e32 v203, 0xbf59a7d5, v19
	v_add_f32_e32 v132, v187, v132
	v_fmac_f32_e32 v188, 0x3dbcf732, v19
	;; [unrolled: 2-line block ×4, first 2 shown]
	v_fmac_f32_e32 v144, 0xbf1a4643, v38
	v_mul_f32_e32 v113, 0xbf06c442, v113
	v_add_f32_e32 v12, v14, v12
	v_fma_f32 v14, v36, s14, -v109
	v_fma_f32 v208, v39, s11, -v207
	v_add_f32_e32 v130, v203, v130
	v_fmac_f32_e32 v204, 0x3f3d2fb0, v36
	v_add_f32_e32 v132, v188, v132
	v_fmac_f32_e32 v189, 0xbf1a4643, v36
	;; [unrolled: 2-line block ×4, first 2 shown]
	v_add_f32_e32 v60, v144, v60
	v_mov_b32_e32 v144, v113
	v_add_f32_e32 v12, v14, v12
	v_fma_f32 v14, v37, s11, -v110
	v_add_f32_e32 v10, v208, v10
	v_mul_f32_e32 v208, 0x3f7ee86f, v114
	v_add_f32_e32 v130, v204, v130
	v_fmac_f32_e32 v205, 0xbf1a4643, v37
	v_add_f32_e32 v132, v189, v132
	v_fmac_f32_e32 v190, 0x3f6eb680, v37
	;; [unrolled: 2-line block ×4, first 2 shown]
	v_fmac_f32_e32 v144, 0xbf59a7d5, v39
	v_mul_f32_e32 v114, 0xbe3c28d5, v114
	v_add_f32_e32 v12, v14, v12
	v_fma_f32 v14, v38, s9, -v111
	v_add_f32_e32 v130, v205, v130
	v_fmac_f32_e32 v206, 0x3ee437d1, v38
	v_add_f32_e32 v132, v190, v132
	v_fmac_f32_e32 v191, 0xbf7ba420, v38
	;; [unrolled: 2-line block ×4, first 2 shown]
	v_add_f32_e32 v60, v144, v60
	v_mov_b32_e32 v144, v114
	v_add_f32_e32 v12, v14, v12
	v_fma_f32 v14, v39, s15, -v113
	v_add_f32_e32 v130, v206, v130
	v_fmac_f32_e32 v207, 0xbe8c1d8e, v39
	v_add_f32_e32 v132, v191, v132
	v_fmac_f32_e32 v192, 0x3f3d2fb0, v39
	;; [unrolled: 2-line block ×4, first 2 shown]
	v_fmac_f32_e32 v144, 0xbf7ba420, v40
	v_add_f32_e32 v25, v28, v25
	v_add_f32_e32 v12, v14, v12
	v_fma_f32 v14, v40, s10, -v114
	v_fma_f32 v209, v40, s14, -v208
	v_add_f32_e32 v130, v207, v130
	v_fmac_f32_e32 v208, 0x3dbcf732, v40
	v_add_f32_e32 v132, v192, v132
	v_fmac_f32_e32 v193, 0xbe8c1d8e, v40
	;; [unrolled: 2-line block ×4, first 2 shown]
	v_add_f32_e32 v60, v144, v60
	v_add_f32_e32 v25, v31, v25
	;; [unrolled: 1-line block ×3, first 2 shown]
	v_lshl_add_u32 v14, v197, 3, v211
	v_add_f32_e32 v10, v209, v10
	v_add_f32_e32 v130, v208, v130
	;; [unrolled: 1-line block ×5, first 2 shown]
	ds_write_b64 v101, v[24:25]
	ds_write2_b64 v14, v[60:61], v[117:118] offset0:16 offset1:32
	ds_write2_b64 v14, v[115:116], v[138:139] offset0:48 offset1:64
	;; [unrolled: 1-line block ×7, first 2 shown]
	v_add_u32_e32 v0, 0x400, v14
	ds_write2_b64 v0, v[22:23], v[12:13] offset0:112 offset1:128
.LBB0_9:
	s_or_b64 exec, exec, s[4:5]
	s_waitcnt lgkmcnt(0)
	s_barrier
	ds_read2_b64 v[0:3], v101 offset1:17
	v_mad_u64_u32 v[4:5], s[4:5], s2, v78, 0
	s_mov_b32 s4, 0x1e1e1e1e
	s_mov_b32 s5, 0x3f6e1e1e
	s_waitcnt lgkmcnt(0)
	v_mul_f32_e32 v6, v96, v1
	v_fmac_f32_e32 v6, v95, v0
	v_cvt_f64_f32_e32 v[6:7], v6
	v_mul_f32_e32 v0, v96, v0
	v_fma_f32 v0, v95, v1, -v0
	v_cvt_f64_f32_e32 v[0:1], v0
	v_mul_f64 v[6:7], v[6:7], s[4:5]
	v_mad_u64_u32 v[8:9], s[8:9], s0, v197, 0
	v_mul_f64 v[0:1], v[0:1], s[4:5]
	v_mad_u64_u32 v[10:11], s[2:3], s3, v78, v[5:6]
	v_mov_b32_e32 v5, v9
	v_mad_u64_u32 v[11:12], s[2:3], s1, v197, v[5:6]
	v_mov_b32_e32 v5, v10
	v_cvt_f32_f64_e32 v6, v[6:7]
	v_cvt_f32_f64_e32 v7, v[0:1]
	v_lshlrev_b64 v[0:1], 3, v[4:5]
	v_mul_f32_e32 v4, v94, v3
	v_fmac_f32_e32 v4, v93, v2
	v_mul_f32_e32 v2, v94, v2
	v_fma_f32 v2, v93, v3, -v2
	v_mov_b32_e32 v9, v11
	v_mov_b32_e32 v10, s7
	v_cvt_f64_f32_e32 v[2:3], v2
	v_add_co_u32_e32 v11, vcc, s6, v0
	v_cvt_f64_f32_e32 v[4:5], v4
	v_addc_co_u32_e32 v12, vcc, v10, v1, vcc
	v_lshlrev_b64 v[0:1], 3, v[8:9]
	v_mul_f64 v[8:9], v[2:3], s[4:5]
	v_add_co_u32_e32 v10, vcc, v11, v0
	v_addc_co_u32_e32 v11, vcc, v12, v1, vcc
	ds_read2_b64 v[0:3], v101 offset0:34 offset1:51
	v_mul_f64 v[4:5], v[4:5], s[4:5]
	global_store_dwordx2 v[10:11], v[6:7], off
	s_mulk_i32 s1, 0x88
	s_mul_hi_u32 s2, s0, 0x88
	s_waitcnt lgkmcnt(0)
	v_mul_f32_e32 v6, v90, v1
	v_fmac_f32_e32 v6, v89, v0
	v_mul_f32_e32 v0, v90, v0
	v_fma_f32 v0, v89, v1, -v0
	v_cvt_f64_f32_e32 v[6:7], v6
	v_cvt_f64_f32_e32 v[0:1], v0
	v_cvt_f32_f64_e32 v4, v[4:5]
	v_cvt_f32_f64_e32 v5, v[8:9]
	s_add_i32 s1, s2, s1
	s_mulk_i32 s0, 0x88
	v_mov_b32_e32 v9, s1
	v_add_co_u32_e32 v8, vcc, s0, v10
	v_mul_f64 v[6:7], v[6:7], s[4:5]
	v_addc_co_u32_e32 v9, vcc, v11, v9, vcc
	v_mul_f64 v[0:1], v[0:1], s[4:5]
	global_store_dwordx2 v[8:9], v[4:5], off
	v_mul_f32_e32 v5, v86, v3
	v_fmac_f32_e32 v5, v85, v2
	v_mul_f32_e32 v2, v86, v2
	v_fma_f32 v2, v85, v3, -v2
	v_cvt_f64_f32_e32 v[2:3], v2
	v_cvt_f32_f64_e32 v4, v[6:7]
	v_cvt_f64_f32_e32 v[6:7], v5
	v_cvt_f32_f64_e32 v5, v[0:1]
	v_mul_f64 v[10:11], v[2:3], s[4:5]
	ds_read2_b64 v[0:3], v101 offset0:68 offset1:85
	v_mov_b32_e32 v12, s1
	v_add_co_u32_e32 v8, vcc, s0, v8
	v_addc_co_u32_e32 v9, vcc, v9, v12, vcc
	global_store_dwordx2 v[8:9], v[4:5], off
	s_waitcnt lgkmcnt(0)
	v_mul_f32_e32 v4, v92, v1
	v_fmac_f32_e32 v4, v91, v0
	v_cvt_f64_f32_e32 v[4:5], v4
	v_mul_f32_e32 v0, v92, v0
	v_fma_f32 v0, v91, v1, -v0
	v_mul_f64 v[6:7], v[6:7], s[4:5]
	v_mul_f64 v[4:5], v[4:5], s[4:5]
	v_cvt_f64_f32_e32 v[0:1], v0
	v_add_co_u32_e32 v8, vcc, s0, v8
	v_mul_f64 v[0:1], v[0:1], s[4:5]
	v_cvt_f32_f64_e32 v6, v[6:7]
	v_cvt_f32_f64_e32 v4, v[4:5]
	v_mul_f32_e32 v5, v88, v3
	v_fmac_f32_e32 v5, v87, v2
	v_mul_f32_e32 v2, v88, v2
	v_fma_f32 v2, v87, v3, -v2
	v_cvt_f32_f64_e32 v7, v[10:11]
	v_cvt_f64_f32_e32 v[2:3], v2
	v_mov_b32_e32 v10, s1
	v_addc_co_u32_e32 v9, vcc, v9, v10, vcc
	global_store_dwordx2 v[8:9], v[6:7], off
	v_cvt_f64_f32_e32 v[6:7], v5
	v_cvt_f32_f64_e32 v5, v[0:1]
	v_mul_f64 v[10:11], v[2:3], s[4:5]
	ds_read2_b64 v[0:3], v101 offset0:102 offset1:119
	v_add_co_u32_e32 v8, vcc, s0, v8
	v_addc_co_u32_e32 v9, vcc, v9, v12, vcc
	global_store_dwordx2 v[8:9], v[4:5], off
	s_waitcnt lgkmcnt(0)
	v_mul_f32_e32 v4, v82, v1
	v_fmac_f32_e32 v4, v81, v0
	v_cvt_f64_f32_e32 v[4:5], v4
	v_mul_f32_e32 v0, v82, v0
	v_fma_f32 v0, v81, v1, -v0
	v_mul_f64 v[6:7], v[6:7], s[4:5]
	v_mul_f64 v[4:5], v[4:5], s[4:5]
	v_cvt_f64_f32_e32 v[0:1], v0
	v_add_co_u32_e32 v8, vcc, s0, v8
	v_mul_f64 v[0:1], v[0:1], s[4:5]
	v_cvt_f32_f64_e32 v6, v[6:7]
	v_cvt_f32_f64_e32 v4, v[4:5]
	v_mul_f32_e32 v5, v77, v3
	v_fmac_f32_e32 v5, v76, v2
	v_mul_f32_e32 v2, v77, v2
	v_fma_f32 v2, v76, v3, -v2
	v_cvt_f32_f64_e32 v7, v[10:11]
	v_cvt_f64_f32_e32 v[2:3], v2
	v_mov_b32_e32 v10, s1
	v_addc_co_u32_e32 v9, vcc, v9, v10, vcc
	global_store_dwordx2 v[8:9], v[6:7], off
	v_cvt_f64_f32_e32 v[6:7], v5
	v_cvt_f32_f64_e32 v5, v[0:1]
	v_mul_f64 v[10:11], v[2:3], s[4:5]
	ds_read2_b64 v[0:3], v101 offset0:136 offset1:153
	;; [unrolled: 29-line block ×4, first 2 shown]
	v_add_co_u32_e32 v8, vcc, s0, v8
	v_addc_co_u32_e32 v9, vcc, v9, v12, vcc
	global_store_dwordx2 v[8:9], v[4:5], off
	s_waitcnt lgkmcnt(0)
	v_mul_f32_e32 v4, v69, v1
	v_fmac_f32_e32 v4, v68, v0
	v_cvt_f64_f32_e32 v[4:5], v4
	v_mul_f64 v[6:7], v[6:7], s[4:5]
	v_mul_f32_e32 v0, v69, v0
	v_fma_f32 v0, v68, v1, -v0
	v_mul_f64 v[4:5], v[4:5], s[4:5]
	v_cvt_f64_f32_e32 v[0:1], v0
	v_add_co_u32_e32 v8, vcc, s0, v8
	v_cvt_f32_f64_e32 v6, v[6:7]
	v_cvt_f32_f64_e32 v7, v[10:11]
	v_mov_b32_e32 v10, s1
	v_mul_f64 v[0:1], v[0:1], s[4:5]
	v_cvt_f32_f64_e32 v4, v[4:5]
	v_mul_f32_e32 v5, v71, v3
	v_addc_co_u32_e32 v9, vcc, v9, v10, vcc
	v_fmac_f32_e32 v5, v70, v2
	global_store_dwordx2 v[8:9], v[6:7], off
	v_cvt_f64_f32_e32 v[6:7], v5
	v_mul_f32_e32 v2, v71, v2
	v_fma_f32 v2, v70, v3, -v2
	v_cvt_f64_f32_e32 v[2:3], v2
	v_mul_f64 v[6:7], v[6:7], s[4:5]
	v_cvt_f32_f64_e32 v5, v[0:1]
	v_mov_b32_e32 v0, s1
	v_add_co_u32_e32 v8, vcc, s0, v8
	v_mul_f64 v[10:11], v[2:3], s[4:5]
	v_addc_co_u32_e32 v9, vcc, v9, v0, vcc
	ds_read2_b64 v[0:3], v101 offset0:238 offset1:255
	global_store_dwordx2 v[8:9], v[4:5], off
	v_cvt_f32_f64_e32 v4, v[6:7]
	v_add_co_u32_e32 v8, vcc, s0, v8
	s_waitcnt lgkmcnt(0)
	v_mul_f32_e32 v6, v67, v1
	v_fmac_f32_e32 v6, v66, v0
	v_mul_f32_e32 v0, v67, v0
	v_fma_f32 v0, v66, v1, -v0
	v_cvt_f32_f64_e32 v5, v[10:11]
	v_cvt_f64_f32_e32 v[6:7], v6
	v_cvt_f64_f32_e32 v[0:1], v0
	v_mov_b32_e32 v10, s1
	v_addc_co_u32_e32 v9, vcc, v9, v10, vcc
	global_store_dwordx2 v[8:9], v[4:5], off
	v_mul_f64 v[4:5], v[6:7], s[4:5]
	v_mul_f64 v[0:1], v[0:1], s[4:5]
	v_mul_f32_e32 v6, v65, v3
	v_fmac_f32_e32 v6, v64, v2
	v_mul_f32_e32 v2, v65, v2
	v_fma_f32 v2, v64, v3, -v2
	v_cvt_f64_f32_e32 v[6:7], v6
	v_cvt_f64_f32_e32 v[2:3], v2
	v_cvt_f32_f64_e32 v4, v[4:5]
	v_cvt_f32_f64_e32 v5, v[0:1]
	v_mul_f64 v[0:1], v[6:7], s[4:5]
	v_mul_f64 v[2:3], v[2:3], s[4:5]
	v_mov_b32_e32 v7, s1
	v_add_co_u32_e32 v6, vcc, s0, v8
	v_addc_co_u32_e32 v7, vcc, v9, v7, vcc
	global_store_dwordx2 v[6:7], v[4:5], off
	v_cvt_f32_f64_e32 v0, v[0:1]
	v_cvt_f32_f64_e32 v1, v[2:3]
	v_mov_b32_e32 v3, s1
	v_add_co_u32_e32 v2, vcc, s0, v6
	v_addc_co_u32_e32 v3, vcc, v7, v3, vcc
	global_store_dwordx2 v[2:3], v[0:1], off
.LBB0_10:
	s_endpgm
	.section	.rodata,"a",@progbits
	.p2align	6, 0x0
	.amdhsa_kernel bluestein_single_fwd_len272_dim1_sp_op_CI_CI
		.amdhsa_group_segment_fixed_size 15232
		.amdhsa_private_segment_fixed_size 16
		.amdhsa_kernarg_size 104
		.amdhsa_user_sgpr_count 6
		.amdhsa_user_sgpr_private_segment_buffer 1
		.amdhsa_user_sgpr_dispatch_ptr 0
		.amdhsa_user_sgpr_queue_ptr 0
		.amdhsa_user_sgpr_kernarg_segment_ptr 1
		.amdhsa_user_sgpr_dispatch_id 0
		.amdhsa_user_sgpr_flat_scratch_init 0
		.amdhsa_user_sgpr_private_segment_size 0
		.amdhsa_uses_dynamic_stack 0
		.amdhsa_system_sgpr_private_segment_wavefront_offset 1
		.amdhsa_system_sgpr_workgroup_id_x 1
		.amdhsa_system_sgpr_workgroup_id_y 0
		.amdhsa_system_sgpr_workgroup_id_z 0
		.amdhsa_system_sgpr_workgroup_info 0
		.amdhsa_system_vgpr_workitem_id 0
		.amdhsa_next_free_vgpr 256
		.amdhsa_next_free_sgpr 24
		.amdhsa_reserve_vcc 1
		.amdhsa_reserve_flat_scratch 0
		.amdhsa_float_round_mode_32 0
		.amdhsa_float_round_mode_16_64 0
		.amdhsa_float_denorm_mode_32 3
		.amdhsa_float_denorm_mode_16_64 3
		.amdhsa_dx10_clamp 1
		.amdhsa_ieee_mode 1
		.amdhsa_fp16_overflow 0
		.amdhsa_exception_fp_ieee_invalid_op 0
		.amdhsa_exception_fp_denorm_src 0
		.amdhsa_exception_fp_ieee_div_zero 0
		.amdhsa_exception_fp_ieee_overflow 0
		.amdhsa_exception_fp_ieee_underflow 0
		.amdhsa_exception_fp_ieee_inexact 0
		.amdhsa_exception_int_div_zero 0
	.end_amdhsa_kernel
	.text
.Lfunc_end0:
	.size	bluestein_single_fwd_len272_dim1_sp_op_CI_CI, .Lfunc_end0-bluestein_single_fwd_len272_dim1_sp_op_CI_CI
                                        ; -- End function
	.section	.AMDGPU.csdata,"",@progbits
; Kernel info:
; codeLenInByte = 16592
; NumSgprs: 28
; NumVgprs: 256
; ScratchSize: 16
; MemoryBound: 0
; FloatMode: 240
; IeeeMode: 1
; LDSByteSize: 15232 bytes/workgroup (compile time only)
; SGPRBlocks: 3
; VGPRBlocks: 63
; NumSGPRsForWavesPerEU: 28
; NumVGPRsForWavesPerEU: 256
; Occupancy: 1
; WaveLimiterHint : 1
; COMPUTE_PGM_RSRC2:SCRATCH_EN: 1
; COMPUTE_PGM_RSRC2:USER_SGPR: 6
; COMPUTE_PGM_RSRC2:TRAP_HANDLER: 0
; COMPUTE_PGM_RSRC2:TGID_X_EN: 1
; COMPUTE_PGM_RSRC2:TGID_Y_EN: 0
; COMPUTE_PGM_RSRC2:TGID_Z_EN: 0
; COMPUTE_PGM_RSRC2:TIDIG_COMP_CNT: 0
	.type	__hip_cuid_a8c438a087351fbc,@object ; @__hip_cuid_a8c438a087351fbc
	.section	.bss,"aw",@nobits
	.globl	__hip_cuid_a8c438a087351fbc
__hip_cuid_a8c438a087351fbc:
	.byte	0                               ; 0x0
	.size	__hip_cuid_a8c438a087351fbc, 1

	.ident	"AMD clang version 19.0.0git (https://github.com/RadeonOpenCompute/llvm-project roc-6.4.0 25133 c7fe45cf4b819c5991fe208aaa96edf142730f1d)"
	.section	".note.GNU-stack","",@progbits
	.addrsig
	.addrsig_sym __hip_cuid_a8c438a087351fbc
	.amdgpu_metadata
---
amdhsa.kernels:
  - .args:
      - .actual_access:  read_only
        .address_space:  global
        .offset:         0
        .size:           8
        .value_kind:     global_buffer
      - .actual_access:  read_only
        .address_space:  global
        .offset:         8
        .size:           8
        .value_kind:     global_buffer
      - .actual_access:  read_only
        .address_space:  global
        .offset:         16
        .size:           8
        .value_kind:     global_buffer
      - .actual_access:  read_only
        .address_space:  global
        .offset:         24
        .size:           8
        .value_kind:     global_buffer
      - .actual_access:  read_only
        .address_space:  global
        .offset:         32
        .size:           8
        .value_kind:     global_buffer
      - .offset:         40
        .size:           8
        .value_kind:     by_value
      - .address_space:  global
        .offset:         48
        .size:           8
        .value_kind:     global_buffer
      - .address_space:  global
        .offset:         56
        .size:           8
        .value_kind:     global_buffer
      - .address_space:  global
        .offset:         64
        .size:           8
        .value_kind:     global_buffer
      - .address_space:  global
        .offset:         72
        .size:           8
        .value_kind:     global_buffer
      - .offset:         80
        .size:           4
        .value_kind:     by_value
      - .address_space:  global
        .offset:         88
        .size:           8
        .value_kind:     global_buffer
      - .address_space:  global
        .offset:         96
        .size:           8
        .value_kind:     global_buffer
    .group_segment_fixed_size: 15232
    .kernarg_segment_align: 8
    .kernarg_segment_size: 104
    .language:       OpenCL C
    .language_version:
      - 2
      - 0
    .max_flat_workgroup_size: 119
    .name:           bluestein_single_fwd_len272_dim1_sp_op_CI_CI
    .private_segment_fixed_size: 16
    .sgpr_count:     28
    .sgpr_spill_count: 0
    .symbol:         bluestein_single_fwd_len272_dim1_sp_op_CI_CI.kd
    .uniform_work_group_size: 1
    .uses_dynamic_stack: false
    .vgpr_count:     256
    .vgpr_spill_count: 3
    .wavefront_size: 64
amdhsa.target:   amdgcn-amd-amdhsa--gfx906
amdhsa.version:
  - 1
  - 2
...

	.end_amdgpu_metadata
